;; amdgpu-corpus repo=ROCm/rocFFT kind=compiled arch=gfx1201 opt=O3
	.text
	.amdgcn_target "amdgcn-amd-amdhsa--gfx1201"
	.amdhsa_code_object_version 6
	.protected	fft_rtc_fwd_len1372_factors_2_2_7_7_7_wgs_196_tpt_98_halfLds_dp_ip_CI_unitstride_sbrr_C2R_dirReg ; -- Begin function fft_rtc_fwd_len1372_factors_2_2_7_7_7_wgs_196_tpt_98_halfLds_dp_ip_CI_unitstride_sbrr_C2R_dirReg
	.globl	fft_rtc_fwd_len1372_factors_2_2_7_7_7_wgs_196_tpt_98_halfLds_dp_ip_CI_unitstride_sbrr_C2R_dirReg
	.p2align	8
	.type	fft_rtc_fwd_len1372_factors_2_2_7_7_7_wgs_196_tpt_98_halfLds_dp_ip_CI_unitstride_sbrr_C2R_dirReg,@function
fft_rtc_fwd_len1372_factors_2_2_7_7_7_wgs_196_tpt_98_halfLds_dp_ip_CI_unitstride_sbrr_C2R_dirReg: ; @fft_rtc_fwd_len1372_factors_2_2_7_7_7_wgs_196_tpt_98_halfLds_dp_ip_CI_unitstride_sbrr_C2R_dirReg
; %bb.0:
	s_clause 0x2
	s_load_b128 s[4:7], s[0:1], 0x0
	s_load_b64 s[8:9], s[0:1], 0x50
	s_load_b64 s[10:11], s[0:1], 0x18
	v_mul_u32_u24_e32 v1, 0x29d, v0
	v_mov_b32_e32 v3, 0
	s_delay_alu instid0(VALU_DEP_2) | instskip(SKIP_2) | instid1(VALU_DEP_4)
	v_lshrrev_b32_e32 v9, 16, v1
	v_mov_b32_e32 v1, 0
	v_mov_b32_e32 v2, 0
	;; [unrolled: 1-line block ×3, first 2 shown]
	s_delay_alu instid0(VALU_DEP_4) | instskip(SKIP_2) | instid1(VALU_DEP_1)
	v_lshl_add_u32 v5, ttmp9, 1, v9
	s_wait_kmcnt 0x0
	v_cmp_lt_u64_e64 s2, s[6:7], 2
	s_and_b32 vcc_lo, exec_lo, s2
	s_cbranch_vccnz .LBB0_8
; %bb.1:
	s_load_b64 s[2:3], s[0:1], 0x10
	v_mov_b32_e32 v1, 0
	v_mov_b32_e32 v2, 0
	s_add_nc_u64 s[12:13], s[10:11], 8
	s_mov_b64 s[14:15], 1
	s_wait_kmcnt 0x0
	s_add_nc_u64 s[16:17], s[2:3], 8
	s_mov_b32 s3, 0
.LBB0_2:                                ; =>This Inner Loop Header: Depth=1
	s_load_b64 s[18:19], s[16:17], 0x0
                                        ; implicit-def: $vgpr7_vgpr8
	s_mov_b32 s2, exec_lo
	s_wait_kmcnt 0x0
	v_or_b32_e32 v4, s19, v6
	s_delay_alu instid0(VALU_DEP_1)
	v_cmpx_ne_u64_e32 0, v[3:4]
	s_wait_alu 0xfffe
	s_xor_b32 s20, exec_lo, s2
	s_cbranch_execz .LBB0_4
; %bb.3:                                ;   in Loop: Header=BB0_2 Depth=1
	s_cvt_f32_u32 s2, s18
	s_cvt_f32_u32 s21, s19
	s_sub_nc_u64 s[24:25], 0, s[18:19]
	s_wait_alu 0xfffe
	s_delay_alu instid0(SALU_CYCLE_1) | instskip(SKIP_1) | instid1(SALU_CYCLE_2)
	s_fmamk_f32 s2, s21, 0x4f800000, s2
	s_wait_alu 0xfffe
	v_s_rcp_f32 s2, s2
	s_delay_alu instid0(TRANS32_DEP_1) | instskip(SKIP_1) | instid1(SALU_CYCLE_2)
	s_mul_f32 s2, s2, 0x5f7ffffc
	s_wait_alu 0xfffe
	s_mul_f32 s21, s2, 0x2f800000
	s_wait_alu 0xfffe
	s_delay_alu instid0(SALU_CYCLE_2) | instskip(SKIP_1) | instid1(SALU_CYCLE_2)
	s_trunc_f32 s21, s21
	s_wait_alu 0xfffe
	s_fmamk_f32 s2, s21, 0xcf800000, s2
	s_cvt_u32_f32 s23, s21
	s_wait_alu 0xfffe
	s_delay_alu instid0(SALU_CYCLE_1) | instskip(SKIP_1) | instid1(SALU_CYCLE_2)
	s_cvt_u32_f32 s22, s2
	s_wait_alu 0xfffe
	s_mul_u64 s[26:27], s[24:25], s[22:23]
	s_wait_alu 0xfffe
	s_mul_hi_u32 s29, s22, s27
	s_mul_i32 s28, s22, s27
	s_mul_hi_u32 s2, s22, s26
	s_mul_i32 s30, s23, s26
	s_wait_alu 0xfffe
	s_add_nc_u64 s[28:29], s[2:3], s[28:29]
	s_mul_hi_u32 s21, s23, s26
	s_mul_hi_u32 s31, s23, s27
	s_add_co_u32 s2, s28, s30
	s_wait_alu 0xfffe
	s_add_co_ci_u32 s2, s29, s21
	s_mul_i32 s26, s23, s27
	s_add_co_ci_u32 s27, s31, 0
	s_wait_alu 0xfffe
	s_add_nc_u64 s[26:27], s[2:3], s[26:27]
	s_wait_alu 0xfffe
	v_add_co_u32 v4, s2, s22, s26
	s_delay_alu instid0(VALU_DEP_1) | instskip(SKIP_1) | instid1(VALU_DEP_1)
	s_cmp_lg_u32 s2, 0
	s_add_co_ci_u32 s23, s23, s27
	v_readfirstlane_b32 s22, v4
	s_wait_alu 0xfffe
	s_delay_alu instid0(VALU_DEP_1)
	s_mul_u64 s[24:25], s[24:25], s[22:23]
	s_wait_alu 0xfffe
	s_mul_hi_u32 s27, s22, s25
	s_mul_i32 s26, s22, s25
	s_mul_hi_u32 s2, s22, s24
	s_mul_i32 s28, s23, s24
	s_wait_alu 0xfffe
	s_add_nc_u64 s[26:27], s[2:3], s[26:27]
	s_mul_hi_u32 s21, s23, s24
	s_mul_hi_u32 s22, s23, s25
	s_wait_alu 0xfffe
	s_add_co_u32 s2, s26, s28
	s_add_co_ci_u32 s2, s27, s21
	s_mul_i32 s24, s23, s25
	s_add_co_ci_u32 s25, s22, 0
	s_wait_alu 0xfffe
	s_add_nc_u64 s[24:25], s[2:3], s[24:25]
	s_wait_alu 0xfffe
	v_add_co_u32 v4, s2, v4, s24
	s_delay_alu instid0(VALU_DEP_1) | instskip(SKIP_1) | instid1(VALU_DEP_1)
	s_cmp_lg_u32 s2, 0
	s_add_co_ci_u32 s2, s23, s25
	v_mul_hi_u32 v14, v5, v4
	s_wait_alu 0xfffe
	v_mad_co_u64_u32 v[7:8], null, v5, s2, 0
	v_mad_co_u64_u32 v[10:11], null, v6, v4, 0
	;; [unrolled: 1-line block ×3, first 2 shown]
	s_delay_alu instid0(VALU_DEP_3) | instskip(SKIP_1) | instid1(VALU_DEP_4)
	v_add_co_u32 v4, vcc_lo, v14, v7
	s_wait_alu 0xfffd
	v_add_co_ci_u32_e32 v7, vcc_lo, 0, v8, vcc_lo
	s_delay_alu instid0(VALU_DEP_2) | instskip(SKIP_1) | instid1(VALU_DEP_2)
	v_add_co_u32 v4, vcc_lo, v4, v10
	s_wait_alu 0xfffd
	v_add_co_ci_u32_e32 v4, vcc_lo, v7, v11, vcc_lo
	s_wait_alu 0xfffd
	v_add_co_ci_u32_e32 v7, vcc_lo, 0, v13, vcc_lo
	s_delay_alu instid0(VALU_DEP_2) | instskip(SKIP_1) | instid1(VALU_DEP_2)
	v_add_co_u32 v4, vcc_lo, v4, v12
	s_wait_alu 0xfffd
	v_add_co_ci_u32_e32 v10, vcc_lo, 0, v7, vcc_lo
	s_delay_alu instid0(VALU_DEP_2) | instskip(SKIP_1) | instid1(VALU_DEP_3)
	v_mul_lo_u32 v11, s19, v4
	v_mad_co_u64_u32 v[7:8], null, s18, v4, 0
	v_mul_lo_u32 v12, s18, v10
	s_delay_alu instid0(VALU_DEP_2) | instskip(NEXT) | instid1(VALU_DEP_2)
	v_sub_co_u32 v7, vcc_lo, v5, v7
	v_add3_u32 v8, v8, v12, v11
	s_delay_alu instid0(VALU_DEP_1) | instskip(SKIP_1) | instid1(VALU_DEP_1)
	v_sub_nc_u32_e32 v11, v6, v8
	s_wait_alu 0xfffd
	v_subrev_co_ci_u32_e64 v11, s2, s19, v11, vcc_lo
	v_add_co_u32 v12, s2, v4, 2
	s_wait_alu 0xf1ff
	v_add_co_ci_u32_e64 v13, s2, 0, v10, s2
	v_sub_co_u32 v14, s2, v7, s18
	v_sub_co_ci_u32_e32 v8, vcc_lo, v6, v8, vcc_lo
	s_wait_alu 0xf1ff
	v_subrev_co_ci_u32_e64 v11, s2, 0, v11, s2
	s_delay_alu instid0(VALU_DEP_3) | instskip(NEXT) | instid1(VALU_DEP_3)
	v_cmp_le_u32_e32 vcc_lo, s18, v14
	v_cmp_eq_u32_e64 s2, s19, v8
	s_wait_alu 0xfffd
	v_cndmask_b32_e64 v14, 0, -1, vcc_lo
	v_cmp_le_u32_e32 vcc_lo, s19, v11
	s_wait_alu 0xfffd
	v_cndmask_b32_e64 v15, 0, -1, vcc_lo
	v_cmp_le_u32_e32 vcc_lo, s18, v7
	;; [unrolled: 3-line block ×3, first 2 shown]
	s_wait_alu 0xfffd
	v_cndmask_b32_e64 v16, 0, -1, vcc_lo
	v_cmp_eq_u32_e32 vcc_lo, s19, v11
	s_wait_alu 0xf1ff
	s_delay_alu instid0(VALU_DEP_2)
	v_cndmask_b32_e64 v7, v16, v7, s2
	s_wait_alu 0xfffd
	v_cndmask_b32_e32 v11, v15, v14, vcc_lo
	v_add_co_u32 v14, vcc_lo, v4, 1
	s_wait_alu 0xfffd
	v_add_co_ci_u32_e32 v15, vcc_lo, 0, v10, vcc_lo
	s_delay_alu instid0(VALU_DEP_3) | instskip(SKIP_1) | instid1(VALU_DEP_2)
	v_cmp_ne_u32_e32 vcc_lo, 0, v11
	s_wait_alu 0xfffd
	v_dual_cndmask_b32 v8, v15, v13 :: v_dual_cndmask_b32 v11, v14, v12
	v_cmp_ne_u32_e32 vcc_lo, 0, v7
	s_wait_alu 0xfffd
	s_delay_alu instid0(VALU_DEP_2)
	v_dual_cndmask_b32 v8, v10, v8 :: v_dual_cndmask_b32 v7, v4, v11
.LBB0_4:                                ;   in Loop: Header=BB0_2 Depth=1
	s_wait_alu 0xfffe
	s_and_not1_saveexec_b32 s2, s20
	s_cbranch_execz .LBB0_6
; %bb.5:                                ;   in Loop: Header=BB0_2 Depth=1
	v_cvt_f32_u32_e32 v4, s18
	s_sub_co_i32 s20, 0, s18
	s_delay_alu instid0(VALU_DEP_1) | instskip(NEXT) | instid1(TRANS32_DEP_1)
	v_rcp_iflag_f32_e32 v4, v4
	v_mul_f32_e32 v4, 0x4f7ffffe, v4
	s_delay_alu instid0(VALU_DEP_1) | instskip(SKIP_1) | instid1(VALU_DEP_1)
	v_cvt_u32_f32_e32 v4, v4
	s_wait_alu 0xfffe
	v_mul_lo_u32 v7, s20, v4
	s_delay_alu instid0(VALU_DEP_1) | instskip(NEXT) | instid1(VALU_DEP_1)
	v_mul_hi_u32 v7, v4, v7
	v_add_nc_u32_e32 v4, v4, v7
	s_delay_alu instid0(VALU_DEP_1) | instskip(NEXT) | instid1(VALU_DEP_1)
	v_mul_hi_u32 v4, v5, v4
	v_mul_lo_u32 v7, v4, s18
	v_add_nc_u32_e32 v8, 1, v4
	s_delay_alu instid0(VALU_DEP_2) | instskip(NEXT) | instid1(VALU_DEP_1)
	v_sub_nc_u32_e32 v7, v5, v7
	v_subrev_nc_u32_e32 v10, s18, v7
	v_cmp_le_u32_e32 vcc_lo, s18, v7
	s_wait_alu 0xfffd
	s_delay_alu instid0(VALU_DEP_2) | instskip(NEXT) | instid1(VALU_DEP_1)
	v_dual_cndmask_b32 v7, v7, v10 :: v_dual_cndmask_b32 v4, v4, v8
	v_cmp_le_u32_e32 vcc_lo, s18, v7
	s_delay_alu instid0(VALU_DEP_2) | instskip(SKIP_1) | instid1(VALU_DEP_1)
	v_add_nc_u32_e32 v8, 1, v4
	s_wait_alu 0xfffd
	v_dual_cndmask_b32 v7, v4, v8 :: v_dual_mov_b32 v8, v3
.LBB0_6:                                ;   in Loop: Header=BB0_2 Depth=1
	s_wait_alu 0xfffe
	s_or_b32 exec_lo, exec_lo, s2
	s_load_b64 s[20:21], s[12:13], 0x0
	s_delay_alu instid0(VALU_DEP_1)
	v_mul_lo_u32 v4, v8, s18
	v_mul_lo_u32 v12, v7, s19
	v_mad_co_u64_u32 v[10:11], null, v7, s18, 0
	s_add_nc_u64 s[14:15], s[14:15], 1
	s_add_nc_u64 s[12:13], s[12:13], 8
	s_wait_alu 0xfffe
	v_cmp_ge_u64_e64 s2, s[14:15], s[6:7]
	s_add_nc_u64 s[16:17], s[16:17], 8
	s_delay_alu instid0(VALU_DEP_2) | instskip(NEXT) | instid1(VALU_DEP_3)
	v_add3_u32 v4, v11, v12, v4
	v_sub_co_u32 v5, vcc_lo, v5, v10
	s_wait_alu 0xfffd
	s_delay_alu instid0(VALU_DEP_2) | instskip(SKIP_3) | instid1(VALU_DEP_2)
	v_sub_co_ci_u32_e32 v4, vcc_lo, v6, v4, vcc_lo
	s_and_b32 vcc_lo, exec_lo, s2
	s_wait_kmcnt 0x0
	v_mul_lo_u32 v6, s21, v5
	v_mul_lo_u32 v4, s20, v4
	v_mad_co_u64_u32 v[1:2], null, s20, v5, v[1:2]
	s_delay_alu instid0(VALU_DEP_1)
	v_add3_u32 v2, v6, v2, v4
	s_wait_alu 0xfffe
	s_cbranch_vccnz .LBB0_9
; %bb.7:                                ;   in Loop: Header=BB0_2 Depth=1
	v_dual_mov_b32 v5, v7 :: v_dual_mov_b32 v6, v8
	s_branch .LBB0_2
.LBB0_8:
	v_dual_mov_b32 v8, v6 :: v_dual_mov_b32 v7, v5
.LBB0_9:
	s_lshl_b64 s[2:3], s[6:7], 3
	v_mul_hi_u32 v3, 0x29cbc15, v0
	s_wait_alu 0xfffe
	s_add_nc_u64 s[2:3], s[10:11], s[2:3]
	s_load_b64 s[2:3], s[2:3], 0x0
	s_load_b64 s[0:1], s[0:1], 0x20
	s_delay_alu instid0(VALU_DEP_1)
	v_mul_u32_u24_e32 v3, 0x62, v3
	s_wait_kmcnt 0x0
	v_mad_co_u64_u32 v[5:6], null, s2, v7, v[1:2]
	v_and_b32_e32 v1, 1, v9
	v_mul_lo_u32 v4, s2, v8
	v_mul_lo_u32 v10, s3, v7
	s_delay_alu instid0(VALU_DEP_3) | instskip(NEXT) | instid1(VALU_DEP_2)
	v_cmp_eq_u32_e32 vcc_lo, 1, v1
	v_add3_u32 v6, v10, v6, v4
	s_wait_alu 0xfffd
	v_cndmask_b32_e64 v2, 0, 0x55d, vcc_lo
	v_cmp_gt_u64_e32 vcc_lo, s[0:1], v[7:8]
	v_sub_nc_u32_e32 v4, v0, v3
	v_lshlrev_b64_e32 v[6:7], 4, v[5:6]
	s_delay_alu instid0(VALU_DEP_4)
	v_lshlrev_b32_e32 v16, 4, v2
	s_and_saveexec_b32 s1, vcc_lo
	s_cbranch_execz .LBB0_13
; %bb.10:
	v_mov_b32_e32 v5, 0
	s_delay_alu instid0(VALU_DEP_3) | instskip(SKIP_2) | instid1(VALU_DEP_3)
	v_add_co_u32 v0, s0, s8, v6
	s_wait_alu 0xf1ff
	v_add_co_ci_u32_e64 v1, s0, s9, v7, s0
	v_lshlrev_b64_e32 v[8:9], 4, v[4:5]
	v_lshlrev_b32_e32 v3, 4, v4
	s_mov_b32 s2, exec_lo
	s_delay_alu instid0(VALU_DEP_1) | instskip(NEXT) | instid1(VALU_DEP_3)
	v_add3_u32 v3, 0, v16, v3
	v_add_co_u32 v61, s0, v0, v8
	s_wait_alu 0xf1ff
	v_add_co_ci_u32_e64 v62, s0, v1, v9, s0
	s_clause 0xd
	global_load_b128 v[8:11], v[61:62], off
	global_load_b128 v[12:15], v[61:62], off offset:1568
	global_load_b128 v[17:20], v[61:62], off offset:3136
	;; [unrolled: 1-line block ×13, first 2 shown]
	s_wait_loadcnt 0xd
	ds_store_b128 v3, v[8:11]
	s_wait_loadcnt 0xc
	ds_store_b128 v3, v[12:15] offset:1568
	s_wait_loadcnt 0xb
	ds_store_b128 v3, v[17:20] offset:3136
	s_wait_loadcnt 0xa
	ds_store_b128 v3, v[21:24] offset:4704
	s_wait_loadcnt 0x9
	ds_store_b128 v3, v[25:28] offset:6272
	s_wait_loadcnt 0x8
	ds_store_b128 v3, v[29:32] offset:7840
	s_wait_loadcnt 0x7
	ds_store_b128 v3, v[33:36] offset:9408
	s_wait_loadcnt 0x6
	ds_store_b128 v3, v[37:40] offset:10976
	s_wait_loadcnt 0x5
	ds_store_b128 v3, v[41:44] offset:12544
	s_wait_loadcnt 0x4
	ds_store_b128 v3, v[45:48] offset:14112
	s_wait_loadcnt 0x3
	ds_store_b128 v3, v[49:52] offset:15680
	s_wait_loadcnt 0x2
	ds_store_b128 v3, v[53:56] offset:17248
	s_wait_loadcnt 0x1
	ds_store_b128 v3, v[57:60] offset:18816
	s_wait_loadcnt 0x0
	ds_store_b128 v3, v[61:64] offset:20384
	v_cmpx_eq_u32_e32 0x61, v4
	s_cbranch_execz .LBB0_12
; %bb.11:
	global_load_b128 v[8:11], v[0:1], off offset:21952
	v_mov_b32_e32 v4, 0x61
	s_wait_loadcnt 0x0
	ds_store_b128 v3, v[8:11] offset:20400
.LBB0_12:
	s_wait_alu 0xfffe
	s_or_b32 exec_lo, exec_lo, s2
.LBB0_13:
	s_wait_alu 0xfffe
	s_or_b32 exec_lo, exec_lo, s1
	v_lshl_add_u32 v14, v2, 4, 0
	v_lshlrev_b32_e32 v17, 4, v4
	global_wb scope:SCOPE_SE
	s_wait_dscnt 0x0
	s_barrier_signal -1
	s_barrier_wait -1
	global_inv scope:SCOPE_SE
	v_add_nc_u32_e32 v15, v14, v17
	v_sub_nc_u32_e32 v18, v14, v17
	s_mov_b32 s1, exec_lo
                                        ; implicit-def: $vgpr8_vgpr9
	ds_load_b64 v[10:11], v15
	ds_load_b64 v[12:13], v18 offset:21952
	s_wait_dscnt 0x0
	v_add_f64_e32 v[0:1], v[10:11], v[12:13]
	v_add_f64_e64 v[2:3], v[10:11], -v[12:13]
	v_cmpx_ne_u32_e32 0, v4
	s_wait_alu 0xfffe
	s_xor_b32 s1, exec_lo, s1
	s_cbranch_execz .LBB0_15
; %bb.14:
	v_mov_b32_e32 v5, 0
	v_add_f64_e32 v[8:9], v[10:11], v[12:13]
	v_add_f64_e64 v[23:24], v[10:11], -v[12:13]
	s_delay_alu instid0(VALU_DEP_3) | instskip(NEXT) | instid1(VALU_DEP_1)
	v_lshlrev_b64_e32 v[0:1], 4, v[4:5]
	v_add_co_u32 v0, s0, s4, v0
	s_wait_alu 0xf1ff
	s_delay_alu instid0(VALU_DEP_2)
	v_add_co_ci_u32_e64 v1, s0, s5, v1, s0
	global_load_b128 v[19:22], v[0:1], off offset:21920
	ds_load_b64 v[0:1], v18 offset:21960
	ds_load_b64 v[2:3], v15 offset:8
	s_wait_dscnt 0x0
	v_add_f64_e32 v[10:11], v[0:1], v[2:3]
	v_add_f64_e64 v[0:1], v[2:3], -v[0:1]
	s_wait_loadcnt 0x0
	v_fma_f64 v[2:3], v[23:24], v[21:22], v[8:9]
	v_fma_f64 v[8:9], -v[23:24], v[21:22], v[8:9]
	s_delay_alu instid0(VALU_DEP_3) | instskip(SKIP_1) | instid1(VALU_DEP_4)
	v_fma_f64 v[12:13], v[10:11], v[21:22], -v[0:1]
	v_fma_f64 v[21:22], v[10:11], v[21:22], v[0:1]
	v_fma_f64 v[0:1], -v[10:11], v[19:20], v[2:3]
	s_delay_alu instid0(VALU_DEP_4) | instskip(NEXT) | instid1(VALU_DEP_4)
	v_fma_f64 v[10:11], v[10:11], v[19:20], v[8:9]
	v_fma_f64 v[12:13], v[23:24], v[19:20], v[12:13]
	s_delay_alu instid0(VALU_DEP_4)
	v_fma_f64 v[2:3], v[23:24], v[19:20], v[21:22]
	v_dual_mov_b32 v9, v5 :: v_dual_mov_b32 v8, v4
	ds_store_b128 v18, v[10:13] offset:21952
.LBB0_15:
	s_wait_alu 0xfffe
	s_and_not1_saveexec_b32 s0, s1
	s_cbranch_execz .LBB0_17
; %bb.16:
	ds_load_b128 v[8:11], v14 offset:10976
	s_wait_dscnt 0x0
	v_add_f64_e32 v[19:20], v[8:9], v[8:9]
	v_mul_f64_e32 v[21:22], -2.0, v[10:11]
	v_mov_b32_e32 v8, 0
	v_mov_b32_e32 v9, 0
	ds_store_b128 v14, v[19:22] offset:10976
.LBB0_17:
	s_wait_alu 0xfffe
	s_or_b32 exec_lo, exec_lo, s0
	v_lshlrev_b64_e32 v[8:9], 4, v[8:9]
	s_add_nc_u64 s[0:1], s[4:5], 0x55a0
	v_add_nc_u32_e32 v5, 0x126, v4
	s_mov_b32 s6, 0x37e14327
	s_mov_b32 s2, 0xe976ee23
	;; [unrolled: 1-line block ×3, first 2 shown]
	s_wait_alu 0xfffe
	v_add_co_u32 v31, s0, s0, v8
	s_wait_alu 0xf1ff
	v_add_co_ci_u32_e64 v32, s0, s1, v9, s0
	s_mov_b32 s3, 0xbfe11646
	s_mov_b32 s0, 0x429ad128
	;; [unrolled: 1-line block ×3, first 2 shown]
	s_clause 0x1
	global_load_b128 v[8:11], v[31:32], off offset:1568
	global_load_b128 v[19:22], v[31:32], off offset:3136
	ds_store_b128 v15, v[0:3]
	ds_load_b128 v[0:3], v15 offset:1568
	ds_load_b128 v[23:26], v18 offset:20384
	global_load_b128 v[27:30], v[31:32], off offset:4704
	s_mov_b32 s14, 0x36b3c0b5
	s_mov_b32 s15, 0x3fac98ee
	;; [unrolled: 1-line block ×14, first 2 shown]
	s_wait_dscnt 0x0
	v_add_f64_e32 v[12:13], v[0:1], v[23:24]
	v_add_f64_e32 v[33:34], v[25:26], v[2:3]
	v_add_f64_e64 v[23:24], v[0:1], -v[23:24]
	v_add_f64_e64 v[0:1], v[2:3], -v[25:26]
	s_wait_loadcnt 0x2
	s_delay_alu instid0(VALU_DEP_2) | instskip(NEXT) | instid1(VALU_DEP_2)
	v_fma_f64 v[2:3], v[23:24], v[10:11], v[12:13]
	v_fma_f64 v[25:26], v[33:34], v[10:11], v[0:1]
	v_fma_f64 v[12:13], -v[23:24], v[10:11], v[12:13]
	v_fma_f64 v[35:36], v[33:34], v[10:11], -v[0:1]
	s_delay_alu instid0(VALU_DEP_4) | instskip(NEXT) | instid1(VALU_DEP_4)
	v_fma_f64 v[0:1], -v[33:34], v[8:9], v[2:3]
	v_fma_f64 v[2:3], v[23:24], v[8:9], v[25:26]
	s_delay_alu instid0(VALU_DEP_4) | instskip(NEXT) | instid1(VALU_DEP_4)
	v_fma_f64 v[10:11], v[33:34], v[8:9], v[12:13]
	v_fma_f64 v[12:13], v[23:24], v[8:9], v[35:36]
	ds_store_b128 v15, v[0:3] offset:1568
	ds_store_b128 v18, v[10:13] offset:20384
	ds_load_b128 v[0:3], v15 offset:3136
	ds_load_b128 v[8:11], v18 offset:18816
	global_load_b128 v[23:26], v[31:32], off offset:6272
	s_wait_dscnt 0x0
	v_add_f64_e32 v[12:13], v[0:1], v[8:9]
	v_add_f64_e32 v[33:34], v[10:11], v[2:3]
	v_add_f64_e64 v[35:36], v[0:1], -v[8:9]
	v_add_f64_e64 v[0:1], v[2:3], -v[10:11]
	s_wait_loadcnt 0x2
	s_delay_alu instid0(VALU_DEP_2) | instskip(NEXT) | instid1(VALU_DEP_2)
	v_fma_f64 v[2:3], v[35:36], v[21:22], v[12:13]
	v_fma_f64 v[8:9], v[33:34], v[21:22], v[0:1]
	v_fma_f64 v[10:11], -v[35:36], v[21:22], v[12:13]
	v_fma_f64 v[12:13], v[33:34], v[21:22], -v[0:1]
	s_delay_alu instid0(VALU_DEP_4) | instskip(NEXT) | instid1(VALU_DEP_4)
	v_fma_f64 v[0:1], -v[33:34], v[19:20], v[2:3]
	v_fma_f64 v[2:3], v[35:36], v[19:20], v[8:9]
	s_delay_alu instid0(VALU_DEP_4) | instskip(NEXT) | instid1(VALU_DEP_4)
	v_fma_f64 v[8:9], v[33:34], v[19:20], v[10:11]
	v_fma_f64 v[10:11], v[35:36], v[19:20], v[12:13]
	ds_store_b128 v15, v[0:3] offset:3136
	ds_store_b128 v18, v[8:11] offset:18816
	ds_load_b128 v[0:3], v15 offset:4704
	ds_load_b128 v[8:11], v18 offset:17248
	global_load_b128 v[19:22], v[31:32], off offset:7840
	s_wait_dscnt 0x0
	v_add_f64_e32 v[12:13], v[0:1], v[8:9]
	v_add_f64_e32 v[33:34], v[10:11], v[2:3]
	v_add_f64_e64 v[35:36], v[0:1], -v[8:9]
	v_add_f64_e64 v[0:1], v[2:3], -v[10:11]
	s_wait_loadcnt 0x2
	s_delay_alu instid0(VALU_DEP_2) | instskip(NEXT) | instid1(VALU_DEP_2)
	v_fma_f64 v[2:3], v[35:36], v[29:30], v[12:13]
	v_fma_f64 v[8:9], v[33:34], v[29:30], v[0:1]
	v_fma_f64 v[10:11], -v[35:36], v[29:30], v[12:13]
	v_fma_f64 v[12:13], v[33:34], v[29:30], -v[0:1]
	s_delay_alu instid0(VALU_DEP_4) | instskip(NEXT) | instid1(VALU_DEP_4)
	v_fma_f64 v[0:1], -v[33:34], v[27:28], v[2:3]
	v_fma_f64 v[2:3], v[35:36], v[27:28], v[8:9]
	s_delay_alu instid0(VALU_DEP_4) | instskip(NEXT) | instid1(VALU_DEP_4)
	v_fma_f64 v[8:9], v[33:34], v[27:28], v[10:11]
	v_fma_f64 v[10:11], v[35:36], v[27:28], v[12:13]
	ds_store_b128 v15, v[0:3] offset:4704
	ds_store_b128 v18, v[8:11] offset:17248
	ds_load_b128 v[0:3], v15 offset:6272
	ds_load_b128 v[8:11], v18 offset:15680
	global_load_b128 v[27:30], v[31:32], off offset:9408
	s_wait_dscnt 0x0
	v_add_f64_e32 v[12:13], v[0:1], v[8:9]
	v_add_f64_e32 v[31:32], v[10:11], v[2:3]
	v_add_f64_e64 v[33:34], v[0:1], -v[8:9]
	v_add_f64_e64 v[0:1], v[2:3], -v[10:11]
	s_wait_loadcnt 0x2
	s_delay_alu instid0(VALU_DEP_2) | instskip(NEXT) | instid1(VALU_DEP_2)
	v_fma_f64 v[2:3], v[33:34], v[25:26], v[12:13]
	v_fma_f64 v[8:9], v[31:32], v[25:26], v[0:1]
	v_fma_f64 v[10:11], -v[33:34], v[25:26], v[12:13]
	v_fma_f64 v[12:13], v[31:32], v[25:26], -v[0:1]
	s_delay_alu instid0(VALU_DEP_4) | instskip(NEXT) | instid1(VALU_DEP_4)
	v_fma_f64 v[0:1], -v[31:32], v[23:24], v[2:3]
	v_fma_f64 v[2:3], v[33:34], v[23:24], v[8:9]
	s_delay_alu instid0(VALU_DEP_4) | instskip(NEXT) | instid1(VALU_DEP_4)
	v_fma_f64 v[8:9], v[31:32], v[23:24], v[10:11]
	v_fma_f64 v[10:11], v[33:34], v[23:24], v[12:13]
	ds_store_b128 v15, v[0:3] offset:6272
	ds_store_b128 v18, v[8:11] offset:15680
	ds_load_b128 v[0:3], v15 offset:7840
	ds_load_b128 v[8:11], v18 offset:14112
	s_wait_dscnt 0x0
	v_add_f64_e32 v[12:13], v[0:1], v[8:9]
	v_add_f64_e32 v[23:24], v[10:11], v[2:3]
	v_add_f64_e64 v[25:26], v[0:1], -v[8:9]
	v_add_f64_e64 v[0:1], v[2:3], -v[10:11]
	s_wait_loadcnt 0x1
	s_delay_alu instid0(VALU_DEP_2) | instskip(NEXT) | instid1(VALU_DEP_2)
	v_fma_f64 v[2:3], v[25:26], v[21:22], v[12:13]
	v_fma_f64 v[8:9], v[23:24], v[21:22], v[0:1]
	v_fma_f64 v[10:11], -v[25:26], v[21:22], v[12:13]
	v_fma_f64 v[12:13], v[23:24], v[21:22], -v[0:1]
	s_delay_alu instid0(VALU_DEP_4) | instskip(NEXT) | instid1(VALU_DEP_4)
	v_fma_f64 v[0:1], -v[23:24], v[19:20], v[2:3]
	v_fma_f64 v[2:3], v[25:26], v[19:20], v[8:9]
	s_delay_alu instid0(VALU_DEP_4) | instskip(NEXT) | instid1(VALU_DEP_4)
	v_fma_f64 v[8:9], v[23:24], v[19:20], v[10:11]
	v_fma_f64 v[10:11], v[25:26], v[19:20], v[12:13]
	ds_store_b128 v15, v[0:3] offset:7840
	ds_store_b128 v18, v[8:11] offset:14112
	ds_load_b128 v[0:3], v15 offset:9408
	ds_load_b128 v[8:11], v18 offset:12544
	s_wait_dscnt 0x0
	v_add_f64_e32 v[12:13], v[0:1], v[8:9]
	v_add_f64_e32 v[19:20], v[10:11], v[2:3]
	v_add_f64_e64 v[0:1], v[0:1], -v[8:9]
	v_add_f64_e64 v[2:3], v[2:3], -v[10:11]
	s_wait_loadcnt 0x0
	s_delay_alu instid0(VALU_DEP_2) | instskip(NEXT) | instid1(VALU_DEP_2)
	v_fma_f64 v[8:9], v[0:1], v[29:30], v[12:13]
	v_fma_f64 v[10:11], v[19:20], v[29:30], v[2:3]
	v_fma_f64 v[12:13], -v[0:1], v[29:30], v[12:13]
	v_fma_f64 v[2:3], v[19:20], v[29:30], -v[2:3]
	s_delay_alu instid0(VALU_DEP_4) | instskip(NEXT) | instid1(VALU_DEP_4)
	v_fma_f64 v[8:9], -v[19:20], v[27:28], v[8:9]
	v_fma_f64 v[10:11], v[0:1], v[27:28], v[10:11]
	s_delay_alu instid0(VALU_DEP_4) | instskip(NEXT) | instid1(VALU_DEP_4)
	v_fma_f64 v[19:20], v[19:20], v[27:28], v[12:13]
	v_fma_f64 v[21:22], v[0:1], v[27:28], v[2:3]
	v_add3_u32 v0, 0, v17, v16
	v_add_nc_u32_e32 v1, 0x62, v4
	v_add_nc_u32_e32 v3, 0xc4, v4
	v_and_b32_e32 v13, 1, v4
	ds_store_b128 v15, v[8:11] offset:9408
	ds_store_b128 v18, v[19:22] offset:12544
	global_wb scope:SCOPE_SE
	s_wait_dscnt 0x0
	s_barrier_signal -1
	s_barrier_wait -1
	global_inv scope:SCOPE_SE
	global_wb scope:SCOPE_SE
	s_barrier_signal -1
	s_barrier_wait -1
	global_inv scope:SCOPE_SE
	ds_load_b128 v[8:11], v0 offset:10976
	ds_load_b128 v[18:21], v15
	ds_load_b128 v[22:25], v0 offset:1568
	ds_load_b128 v[26:29], v0 offset:12544
	;; [unrolled: 1-line block ×12, first 2 shown]
	v_add_nc_u32_e32 v2, v0, v17
	v_lshlrev_b32_e32 v12, 5, v3
	v_lshlrev_b32_e32 v17, 5, v5
	;; [unrolled: 1-line block ×3, first 2 shown]
	global_wb scope:SCOPE_SE
	s_wait_dscnt 0x0
	s_barrier_signal -1
	v_add3_u32 v12, 0, v12, v16
	v_add_f64_e64 v[70:71], v[18:19], -v[8:9]
	v_add_f64_e64 v[72:73], v[20:21], -v[10:11]
	;; [unrolled: 1-line block ×14, first 2 shown]
	v_add_nc_u32_e32 v8, 0x188, v4
	v_add_nc_u32_e32 v9, 0x1ea, v4
	;; [unrolled: 1-line block ×3, first 2 shown]
	v_lshlrev_b32_e32 v11, 5, v1
	v_add3_u32 v17, 0, v17, v16
	v_lshlrev_b32_e32 v74, 5, v8
	v_lshlrev_b32_e32 v75, 5, v9
	;; [unrolled: 1-line block ×3, first 2 shown]
	v_add3_u32 v11, 0, v11, v16
	s_barrier_wait -1
	v_add3_u32 v74, 0, v74, v16
	v_add3_u32 v75, 0, v75, v16
	;; [unrolled: 1-line block ×3, first 2 shown]
	global_inv scope:SCOPE_SE
	v_lshlrev_b32_e32 v3, 1, v3
	v_lshlrev_b32_e32 v5, 1, v5
	s_delay_alu instid0(VALU_DEP_2) | instskip(NEXT) | instid1(VALU_DEP_2)
	v_and_or_b32 v3, 0x3fc, v3, v13
	v_and_or_b32 v5, 0x3fc, v5, v13
	v_fma_f64 v[18:19], v[18:19], 2.0, -v[70:71]
	v_fma_f64 v[20:21], v[20:21], 2.0, -v[72:73]
	;; [unrolled: 1-line block ×14, first 2 shown]
	ds_store_b128 v2, v[18:21]
	ds_store_b128 v2, v[70:73] offset:16
	ds_store_b128 v11, v[22:25]
	ds_store_b128 v11, v[26:29] offset:16
	;; [unrolled: 2-line block ×7, first 2 shown]
	global_wb scope:SCOPE_SE
	s_wait_dscnt 0x0
	s_barrier_signal -1
	s_barrier_wait -1
	global_inv scope:SCOPE_SE
	global_load_b128 v[17:20], v77, s[4:5]
	ds_load_b128 v[21:24], v0 offset:10976
	ds_load_b128 v[25:28], v0 offset:12544
	;; [unrolled: 1-line block ×8, first 2 shown]
	v_and_b32_e32 v2, 3, v4
	v_lshlrev_b32_e32 v3, 4, v3
	v_lshlrev_b32_e32 v5, 4, v5
	s_delay_alu instid0(VALU_DEP_2) | instskip(NEXT) | instid1(VALU_DEP_2)
	v_add3_u32 v3, 0, v3, v16
	v_add3_u32 v5, 0, v5, v16
	s_wait_loadcnt_dscnt 0x7
	v_mul_f64_e32 v[11:12], v[23:24], v[19:20]
	v_mul_f64_e32 v[53:54], v[21:22], v[19:20]
	s_wait_dscnt 0x6
	v_mul_f64_e32 v[55:56], v[27:28], v[19:20]
	v_mul_f64_e32 v[57:58], v[25:26], v[19:20]
	s_wait_dscnt 0x5
	;; [unrolled: 3-line block ×6, first 2 shown]
	v_mul_f64_e32 v[75:76], v[47:48], v[19:20]
	v_mul_f64_e32 v[19:20], v[45:46], v[19:20]
	v_fma_f64 v[11:12], v[21:22], v[17:18], -v[11:12]
	v_fma_f64 v[53:54], v[23:24], v[17:18], v[53:54]
	v_fma_f64 v[55:56], v[25:26], v[17:18], -v[55:56]
	v_fma_f64 v[57:58], v[27:28], v[17:18], v[57:58]
	;; [unrolled: 2-line block ×7, first 2 shown]
	ds_load_b128 v[17:20], v15
	ds_load_b128 v[21:24], v0 offset:1568
	ds_load_b128 v[25:28], v0 offset:3136
	;; [unrolled: 1-line block ×5, first 2 shown]
	global_wb scope:SCOPE_SE
	s_wait_dscnt 0x0
	s_barrier_signal -1
	s_barrier_wait -1
	global_inv scope:SCOPE_SE
	v_add_f64_e64 v[41:42], v[17:18], -v[11:12]
	v_add_f64_e64 v[43:44], v[19:20], -v[53:54]
	;; [unrolled: 1-line block ×14, first 2 shown]
	v_lshlrev_b32_e32 v11, 1, v4
	v_lshlrev_b32_e32 v73, 1, v8
	;; [unrolled: 1-line block ×5, first 2 shown]
	v_and_or_b32 v76, 0xfc, v11, v13
	v_mul_u32_u24_e32 v77, 6, v2
	s_delay_alu instid0(VALU_DEP_3) | instskip(NEXT) | instid1(VALU_DEP_1)
	v_and_or_b32 v12, 0x1fc, v12, v13
	v_lshlrev_b32_e32 v12, 4, v12
	s_delay_alu instid0(VALU_DEP_1)
	v_add3_u32 v12, 0, v12, v16
	v_fma_f64 v[8:9], v[17:18], 2.0, -v[41:42]
	v_fma_f64 v[10:11], v[19:20], 2.0, -v[43:44]
	;; [unrolled: 1-line block ×14, first 2 shown]
	v_lshlrev_b32_e32 v49, 4, v76
	v_and_or_b32 v50, 0x7fc, v73, v13
	v_and_or_b32 v51, 0x7fc, v74, v13
	;; [unrolled: 1-line block ×3, first 2 shown]
	v_lshlrev_b32_e32 v52, 4, v77
	v_add3_u32 v49, 0, v49, v16
	v_lshlrev_b32_e32 v50, 4, v50
	v_lshlrev_b32_e32 v51, 4, v51
	;; [unrolled: 1-line block ×3, first 2 shown]
	s_delay_alu instid0(VALU_DEP_3) | instskip(NEXT) | instid1(VALU_DEP_3)
	v_add3_u32 v50, 0, v50, v16
	v_add3_u32 v51, 0, v51, v16
	s_delay_alu instid0(VALU_DEP_3)
	v_add3_u32 v13, 0, v13, v16
	ds_store_b128 v49, v[8:11]
	ds_store_b128 v49, v[41:44] offset:32
	ds_store_b128 v12, v[17:20]
	ds_store_b128 v12, v[45:48] offset:32
	;; [unrolled: 2-line block ×7, first 2 shown]
	global_wb scope:SCOPE_SE
	s_wait_dscnt 0x0
	s_barrier_signal -1
	s_barrier_wait -1
	global_inv scope:SCOPE_SE
	s_clause 0x2
	global_load_b128 v[8:11], v52, s[4:5] offset:32
	global_load_b128 v[17:20], v52, s[4:5] offset:48
	;; [unrolled: 1-line block ×3, first 2 shown]
	v_and_b32_e32 v3, 3, v1
	global_load_b128 v[25:28], v52, s[4:5] offset:112
	v_mul_u32_u24_e32 v5, 6, v3
	s_delay_alu instid0(VALU_DEP_1)
	v_lshlrev_b32_e32 v5, 4, v5
	s_clause 0x7
	global_load_b128 v[29:32], v5, s[4:5] offset:32
	global_load_b128 v[33:36], v5, s[4:5] offset:48
	;; [unrolled: 1-line block ×8, first 2 shown]
	ds_load_b128 v[61:64], v0 offset:3136
	ds_load_b128 v[65:68], v0 offset:4704
	;; [unrolled: 1-line block ×3, first 2 shown]
	v_lshrrev_b16 v5, 2, v4
	s_delay_alu instid0(VALU_DEP_1) | instskip(NEXT) | instid1(VALU_DEP_1)
	v_and_b32_e32 v5, 63, v5
	v_mul_lo_u16 v5, v5, 37
	s_delay_alu instid0(VALU_DEP_1)
	v_lshrrev_b16 v5, 8, v5
	s_wait_loadcnt_dscnt 0xb02
	v_mul_f64_e32 v[81:82], v[63:64], v[10:11]
	v_mul_f64_e32 v[83:84], v[61:62], v[10:11]
	s_wait_loadcnt_dscnt 0xa00
	v_mul_f64_e32 v[85:86], v[71:72], v[19:20]
	v_mul_f64_e32 v[19:20], v[69:70], v[19:20]
	ds_load_b128 v[10:13], v0 offset:15680
	ds_load_b128 v[73:76], v0 offset:7840
	;; [unrolled: 1-line block ×3, first 2 shown]
	s_wait_loadcnt_dscnt 0x902
	v_mul_f64_e32 v[87:88], v[12:13], v[23:24]
	v_mul_f64_e32 v[23:24], v[10:11], v[23:24]
	s_wait_loadcnt_dscnt 0x500
	v_mul_f64_e32 v[93:94], v[79:80], v[39:40]
	v_mul_f64_e32 v[39:40], v[77:78], v[39:40]
	v_fma_f64 v[89:90], v[61:62], v[8:9], -v[81:82]
	v_fma_f64 v[91:92], v[63:64], v[8:9], v[83:84]
	ds_load_b128 v[61:64], v0 offset:18816
	ds_load_b128 v[81:84], v0 offset:20384
	v_fma_f64 v[69:70], v[69:70], v[17:18], -v[85:86]
	v_fma_f64 v[71:72], v[71:72], v[17:18], v[19:20]
	s_wait_dscnt 0x1
	v_mul_f64_e32 v[8:9], v[63:64], v[27:28]
	v_mul_f64_e32 v[17:18], v[61:62], v[27:28]
	;; [unrolled: 1-line block ×4, first 2 shown]
	v_fma_f64 v[85:86], v[10:11], v[21:22], -v[87:88]
	v_mul_f64_e32 v[87:88], v[75:76], v[35:36]
	v_mul_f64_e32 v[35:36], v[73:74], v[35:36]
	v_fma_f64 v[12:13], v[12:13], v[21:22], v[23:24]
	v_fma_f64 v[61:62], v[61:62], v[25:26], -v[8:9]
	v_fma_f64 v[63:64], v[63:64], v[25:26], v[17:18]
	v_fma_f64 v[65:66], v[65:66], v[29:30], -v[27:28]
	v_fma_f64 v[29:30], v[67:68], v[29:30], v[31:32]
	s_wait_loadcnt_dscnt 0x400
	v_mul_f64_e32 v[31:32], v[83:84], v[43:44]
	v_mul_f64_e32 v[43:44], v[81:82], v[43:44]
	ds_load_b128 v[8:11], v0 offset:9408
	ds_load_b128 v[17:20], v0 offset:12544
	;; [unrolled: 1-line block ×4, first 2 shown]
	v_fma_f64 v[67:68], v[73:74], v[33:34], -v[87:88]
	v_fma_f64 v[33:34], v[75:76], v[33:34], v[35:36]
	v_fma_f64 v[75:76], v[77:78], v[37:38], -v[93:94]
	v_fma_f64 v[37:38], v[79:80], v[37:38], v[39:40]
	s_wait_loadcnt_dscnt 0x303
	v_mul_f64_e32 v[35:36], v[10:11], v[47:48]
	s_wait_loadcnt_dscnt 0x202
	v_mul_f64_e32 v[73:74], v[19:20], v[51:52]
	v_mul_f64_e32 v[39:40], v[8:9], v[47:48]
	;; [unrolled: 1-line block ×3, first 2 shown]
	s_wait_loadcnt_dscnt 0x101
	v_mul_f64_e32 v[51:52], v[23:24], v[55:56]
	v_mul_f64_e32 v[55:56], v[21:22], v[55:56]
	v_fma_f64 v[31:32], v[81:82], v[41:42], -v[31:32]
	v_fma_f64 v[41:42], v[83:84], v[41:42], v[43:44]
	s_wait_loadcnt_dscnt 0x0
	v_mul_f64_e32 v[43:44], v[27:28], v[59:60]
	v_mul_f64_e32 v[59:60], v[25:26], v[59:60]
	v_fma_f64 v[8:9], v[8:9], v[45:46], -v[35:36]
	v_fma_f64 v[17:18], v[17:18], v[49:50], -v[73:74]
	v_fma_f64 v[10:11], v[10:11], v[45:46], v[39:40]
	v_fma_f64 v[19:20], v[19:20], v[49:50], v[47:48]
	v_add_f64_e32 v[35:36], v[89:90], v[61:62]
	v_add_f64_e32 v[39:40], v[91:92], v[63:64]
	;; [unrolled: 1-line block ×3, first 2 shown]
	v_fma_f64 v[21:22], v[21:22], v[53:54], -v[51:52]
	v_fma_f64 v[23:24], v[23:24], v[53:54], v[55:56]
	v_add_f64_e32 v[51:52], v[67:68], v[75:76]
	v_add_f64_e32 v[53:54], v[33:34], v[37:38]
	v_add_f64_e64 v[55:56], v[69:70], -v[85:86]
	v_add_f64_e64 v[12:13], v[71:72], -v[12:13]
	;; [unrolled: 1-line block ×3, first 2 shown]
	v_add_f64_e32 v[47:48], v[65:66], v[31:32]
	v_add_f64_e32 v[49:50], v[29:30], v[41:42]
	v_fma_f64 v[25:26], v[25:26], v[57:58], -v[43:44]
	v_add_f64_e32 v[43:44], v[69:70], v[85:86]
	v_fma_f64 v[27:28], v[27:28], v[57:58], v[59:60]
	v_add_f64_e64 v[59:60], v[89:90], -v[61:62]
	v_add_f64_e64 v[31:32], v[65:66], -v[31:32]
	;; [unrolled: 1-line block ×4, first 2 shown]
	v_add_f64_e32 v[8:9], v[8:9], v[17:18]
	v_add_f64_e64 v[61:62], v[19:20], -v[10:11]
	v_add_f64_e32 v[10:11], v[10:11], v[19:20]
	v_add_f64_e64 v[17:18], v[67:68], -v[75:76]
	;; [unrolled: 2-line block ×3, first 2 shown]
	v_add_f64_e64 v[77:78], v[45:46], -v[39:40]
	v_add_f64_e64 v[73:74], v[12:13], -v[63:64]
	;; [unrolled: 1-line block ×3, first 2 shown]
	v_add_f64_e32 v[67:68], v[43:44], v[35:36]
	v_add_f64_e64 v[37:38], v[27:28], -v[23:24]
	v_add_f64_e32 v[21:22], v[21:22], v[25:26]
	v_add_f64_e32 v[23:24], v[23:24], v[27:28]
	;; [unrolled: 1-line block ×4, first 2 shown]
	v_add_f64_e64 v[75:76], v[43:44], -v[35:36]
	v_add_f64_e64 v[65:66], v[55:56], -v[59:60]
	;; [unrolled: 1-line block ×6, first 2 shown]
	v_add_f64_e32 v[55:56], v[57:58], v[55:56]
	v_add_f64_e32 v[69:70], v[10:11], v[69:70]
	v_add_f64_e64 v[43:44], v[8:9], -v[43:44]
	v_add_f64_e64 v[45:46], v[10:11], -v[45:46]
	v_add_f64_e32 v[12:13], v[61:62], v[12:13]
	v_add_f64_e64 v[91:92], v[17:18], -v[31:32]
	v_add_f64_e64 v[93:94], v[19:20], -v[29:30]
	;; [unrolled: 1-line block ×4, first 2 shown]
	s_wait_alu 0xf1fe
	v_mul_f64_e32 v[97:98], s[0:1], v[73:74]
	v_add_f64_e32 v[79:80], v[33:34], v[17:18]
	v_add_f64_e32 v[67:68], v[8:9], v[67:68]
	;; [unrolled: 1-line block ×3, first 2 shown]
	v_add_f64_e64 v[83:84], v[47:48], -v[21:22]
	v_add_f64_e64 v[85:86], v[49:50], -v[23:24]
	;; [unrolled: 1-line block ×4, first 2 shown]
	v_add_f64_e32 v[25:26], v[21:22], v[25:26]
	v_add_f64_e32 v[27:28], v[23:24], v[27:28]
	v_add_f64_e64 v[21:22], v[21:22], -v[51:52]
	v_add_f64_e64 v[23:24], v[23:24], -v[53:54]
	ds_load_b128 v[8:11], v15
	ds_load_b128 v[17:20], v0 offset:1568
	v_mul_f64_e32 v[95:96], s[0:1], v[65:66]
	v_add_f64_e64 v[47:48], v[51:52], -v[47:48]
	v_add_f64_e64 v[49:50], v[53:54], -v[49:50]
	;; [unrolled: 1-line block ×4, first 2 shown]
	global_wb scope:SCOPE_SE
	s_wait_dscnt 0x0
	s_barrier_signal -1
	v_mul_f64_e32 v[41:42], s[2:3], v[41:42]
	v_mul_f64_e32 v[35:36], s[6:7], v[35:36]
	;; [unrolled: 1-line block ×4, first 2 shown]
	v_add_f64_e32 v[51:52], v[55:56], v[59:60]
	s_barrier_wait -1
	v_mul_f64_e32 v[53:54], s[14:15], v[43:44]
	v_mul_f64_e32 v[55:56], s[14:15], v[45:46]
	v_add_f64_e32 v[12:13], v[12:13], v[63:64]
	global_inv scope:SCOPE_SE
	v_add_f64_e32 v[10:11], v[10:11], v[69:70]
	v_add_f64_e32 v[31:32], v[79:80], v[31:32]
	;; [unrolled: 1-line block ×4, first 2 shown]
	v_mul_f64_e32 v[59:60], s[6:7], v[83:84]
	v_mul_f64_e32 v[63:64], s[6:7], v[85:86]
	;; [unrolled: 1-line block ×4, first 2 shown]
	v_add_f64_e32 v[17:18], v[17:18], v[25:26]
	v_add_f64_e32 v[19:20], v[19:20], v[27:28]
	v_mul_f64_e32 v[83:84], s[0:1], v[91:92]
	v_mul_f64_e32 v[85:86], s[0:1], v[93:94]
	v_mul_f64_e32 v[87:88], s[14:15], v[21:22]
	v_mul_f64_e32 v[89:90], s[14:15], v[23:24]
	v_fma_f64 v[65:66], v[65:66], s[0:1], -v[41:42]
	v_fma_f64 v[41:42], v[57:58], s[12:13], v[41:42]
	v_fma_f64 v[73:74], v[73:74], s[0:1], -v[71:72]
	v_fma_f64 v[71:72], v[61:62], s[12:13], v[71:72]
	v_fma_f64 v[43:44], v[43:44], s[14:15], v[35:36]
	v_fma_f64 v[45:46], v[45:46], s[14:15], v[39:40]
	v_fma_f64 v[57:58], v[57:58], s[10:11], -v[95:96]
	v_fma_f64 v[61:62], v[61:62], s[10:11], -v[97:98]
	;; [unrolled: 1-line block ×5, first 2 shown]
	v_fma_f64 v[69:70], v[69:70], s[18:19], v[10:11]
	v_fma_f64 v[55:56], v[77:78], s[16:17], -v[55:56]
	v_fma_f64 v[67:68], v[67:68], s[18:19], v[8:9]
	v_fma_f64 v[21:22], v[21:22], s[14:15], v[59:60]
	;; [unrolled: 1-line block ×5, first 2 shown]
	v_fma_f64 v[79:80], v[91:92], s[0:1], -v[79:80]
	v_fma_f64 v[81:82], v[93:94], s[0:1], -v[81:82]
	v_fma_f64 v[25:26], v[25:26], s[18:19], v[17:18]
	v_fma_f64 v[27:28], v[27:28], s[18:19], v[19:20]
	v_fma_f64 v[33:34], v[33:34], s[10:11], -v[83:84]
	v_fma_f64 v[37:38], v[37:38], s[10:11], -v[85:86]
	v_fma_f64 v[59:60], v[47:48], s[20:21], -v[59:60]
	v_fma_f64 v[63:64], v[49:50], s[20:21], -v[63:64]
	v_fma_f64 v[47:48], v[47:48], s[16:17], -v[87:88]
	v_fma_f64 v[49:50], v[49:50], s[16:17], -v[89:90]
	v_lshrrev_b32_e32 v89, 2, v4
	v_mul_lo_u16 v91, v5, 28
	v_lshrrev_b32_e32 v90, 2, v1
	v_fma_f64 v[65:66], v[51:52], s[22:23], v[65:66]
	v_fma_f64 v[83:84], v[51:52], s[22:23], v[41:42]
	v_and_b32_e32 v5, 0xffff, v5
	v_fma_f64 v[41:42], v[12:13], s[22:23], v[71:72]
	v_fma_f64 v[71:72], v[12:13], s[22:23], v[73:74]
	;; [unrolled: 1-line block ×4, first 2 shown]
	v_mad_u32_u24 v5, 0xc40, v5, 0
	v_add_f64_e32 v[45:46], v[45:46], v[69:70]
	v_add_f64_e32 v[39:40], v[39:40], v[69:70]
	;; [unrolled: 1-line block ×6, first 2 shown]
	v_fma_f64 v[67:68], v[31:32], s[22:23], v[75:76]
	v_fma_f64 v[69:70], v[29:30], s[22:23], v[77:78]
	;; [unrolled: 1-line block ×4, first 2 shown]
	v_add_f64_e32 v[79:80], v[21:22], v[25:26]
	v_add_f64_e32 v[81:82], v[23:24], v[27:28]
	v_fma_f64 v[75:76], v[31:32], s[22:23], v[33:34]
	v_fma_f64 v[77:78], v[29:30], s[22:23], v[37:38]
	v_add_f64_e32 v[85:86], v[59:60], v[25:26]
	v_add_f64_e32 v[63:64], v[63:64], v[27:28]
	;; [unrolled: 1-line block ×4, first 2 shown]
	v_add_f64_e64 v[23:24], v[45:46], -v[83:84]
	v_add_f64_e64 v[27:28], v[39:40], -v[51:52]
	v_add_f64_e32 v[39:40], v[51:52], v[39:40]
	v_add_f64_e32 v[21:22], v[41:42], v[43:44]
	;; [unrolled: 1-line block ×3, first 2 shown]
	v_add_f64_e64 v[29:30], v[35:36], -v[71:72]
	v_add_f64_e32 v[31:32], v[65:66], v[53:54]
	v_add_f64_e32 v[33:34], v[71:72], v[35:36]
	v_add_f64_e64 v[35:36], v[53:54], -v[65:66]
	v_add_f64_e64 v[37:38], v[57:58], -v[12:13]
	v_add_f64_e64 v[41:42], v[43:44], -v[41:42]
	v_add_f64_e32 v[43:44], v[83:84], v[45:46]
	v_add_f64_e32 v[45:46], v[69:70], v[79:80]
	v_add_f64_e64 v[47:48], v[81:82], -v[67:68]
	v_add_f64_e64 v[65:66], v[79:80], -v[69:70]
	v_add_f64_e32 v[49:50], v[77:78], v[85:86]
	v_add_f64_e64 v[51:52], v[63:64], -v[75:76]
	v_add_f64_e64 v[53:54], v[59:60], -v[73:74]
	v_add_f64_e32 v[55:56], v[61:62], v[87:88]
	v_add_f64_e32 v[57:58], v[73:74], v[59:60]
	v_add_f64_e64 v[59:60], v[87:88], -v[61:62]
	v_add_f64_e64 v[61:62], v[85:86], -v[77:78]
	v_add_f64_e32 v[63:64], v[75:76], v[63:64]
	v_add_f64_e32 v[67:68], v[67:68], v[81:82]
	v_mul_u32_u24_e32 v12, 28, v89
	v_sub_nc_u16 v69, v4, v91
	v_mul_u32_u24_e32 v13, 28, v90
	s_delay_alu instid0(VALU_DEP_3) | instskip(NEXT) | instid1(VALU_DEP_3)
	v_or_b32_e32 v12, v12, v2
	v_and_b32_e32 v2, 0xff, v69
	s_delay_alu instid0(VALU_DEP_3) | instskip(NEXT) | instid1(VALU_DEP_3)
	v_or_b32_e32 v3, v13, v3
	v_lshlrev_b32_e32 v12, 4, v12
	s_delay_alu instid0(VALU_DEP_3) | instskip(NEXT) | instid1(VALU_DEP_3)
	v_mul_u32_u24_e32 v13, 6, v2
	v_lshlrev_b32_e32 v3, 4, v3
	v_lshlrev_b32_e32 v2, 4, v2
	s_delay_alu instid0(VALU_DEP_4) | instskip(NEXT) | instid1(VALU_DEP_4)
	v_add3_u32 v12, 0, v12, v16
	v_lshlrev_b32_e32 v13, 4, v13
	s_delay_alu instid0(VALU_DEP_4)
	v_add3_u32 v3, 0, v3, v16
	ds_store_b128 v12, v[8:11]
	ds_store_b128 v12, v[21:24] offset:64
	ds_store_b128 v12, v[25:28] offset:128
	;; [unrolled: 1-line block ×6, first 2 shown]
	ds_store_b128 v3, v[17:20]
	ds_store_b128 v3, v[45:48] offset:64
	ds_store_b128 v3, v[49:52] offset:128
	;; [unrolled: 1-line block ×6, first 2 shown]
	global_wb scope:SCOPE_SE
	s_wait_dscnt 0x0
	s_barrier_signal -1
	s_barrier_wait -1
	global_inv scope:SCOPE_SE
	s_clause 0x1
	global_load_b128 v[8:11], v13, s[4:5] offset:416
	global_load_b128 v[17:20], v13, s[4:5] offset:432
	v_lshrrev_b16 v3, 2, v1
	s_clause 0x1
	global_load_b128 v[21:24], v13, s[4:5] offset:480
	global_load_b128 v[25:28], v13, s[4:5] offset:496
	v_add3_u32 v2, v5, v2, v16
	v_and_b32_e32 v3, 63, v3
	s_delay_alu instid0(VALU_DEP_1) | instskip(NEXT) | instid1(VALU_DEP_1)
	v_mul_lo_u16 v3, v3, 37
	v_lshrrev_b16 v3, 8, v3
	s_delay_alu instid0(VALU_DEP_1) | instskip(SKIP_1) | instid1(VALU_DEP_2)
	v_mul_lo_u16 v12, v3, 28
	v_and_b32_e32 v3, 0xffff, v3
	v_sub_nc_u16 v1, v1, v12
	s_delay_alu instid0(VALU_DEP_2) | instskip(NEXT) | instid1(VALU_DEP_2)
	v_mad_u32_u24 v3, 0xc40, v3, 0
	v_and_b32_e32 v1, 0xff, v1
	s_delay_alu instid0(VALU_DEP_1) | instskip(SKIP_1) | instid1(VALU_DEP_2)
	v_mul_u32_u24_e32 v12, 6, v1
	v_lshlrev_b32_e32 v1, 4, v1
	v_lshlrev_b32_e32 v12, 4, v12
	s_clause 0x7
	global_load_b128 v[29:32], v12, s[4:5] offset:416
	global_load_b128 v[33:36], v12, s[4:5] offset:432
	;; [unrolled: 1-line block ×8, first 2 shown]
	ds_load_b128 v[61:64], v0 offset:3136
	ds_load_b128 v[65:68], v0 offset:4704
	v_add3_u32 v1, v3, v1, v16
	s_wait_loadcnt_dscnt 0xb01
	v_mul_f64_e32 v[81:82], v[63:64], v[10:11]
	v_mul_f64_e32 v[83:84], v[61:62], v[10:11]
	ds_load_b128 v[10:13], v0 offset:6272
	ds_load_b128 v[69:72], v0 offset:15680
	;; [unrolled: 1-line block ×4, first 2 shown]
	s_wait_loadcnt_dscnt 0xa03
	v_mul_f64_e32 v[85:86], v[12:13], v[19:20]
	v_mul_f64_e32 v[19:20], v[10:11], v[19:20]
	s_wait_loadcnt_dscnt 0x902
	v_mul_f64_e32 v[87:88], v[71:72], v[23:24]
	v_mul_f64_e32 v[23:24], v[69:70], v[23:24]
	v_fma_f64 v[81:82], v[61:62], v[8:9], -v[81:82]
	v_fma_f64 v[83:84], v[63:64], v[8:9], v[83:84]
	ds_load_b128 v[61:64], v0 offset:18816
	v_fma_f64 v[85:86], v[10:11], v[17:18], -v[85:86]
	v_fma_f64 v[12:13], v[12:13], v[17:18], v[19:20]
	ds_load_b128 v[8:11], v0 offset:20384
	s_wait_loadcnt_dscnt 0x801
	v_mul_f64_e32 v[17:18], v[63:64], v[27:28]
	v_mul_f64_e32 v[19:20], v[61:62], v[27:28]
	v_fma_f64 v[69:70], v[69:70], v[21:22], -v[87:88]
	v_fma_f64 v[71:72], v[71:72], v[21:22], v[23:24]
	s_wait_loadcnt 0x7
	v_mul_f64_e32 v[21:22], v[65:66], v[31:32]
	v_mul_f64_e32 v[27:28], v[67:68], v[31:32]
	s_wait_loadcnt 0x6
	v_mul_f64_e32 v[31:32], v[75:76], v[35:36]
	v_mul_f64_e32 v[35:36], v[73:74], v[35:36]
	;; [unrolled: 3-line block ×3, first 2 shown]
	s_wait_loadcnt_dscnt 0x400
	v_mul_f64_e32 v[89:90], v[10:11], v[43:44]
	v_mul_f64_e32 v[43:44], v[8:9], v[43:44]
	v_fma_f64 v[61:62], v[61:62], v[25:26], -v[17:18]
	v_fma_f64 v[63:64], v[63:64], v[25:26], v[19:20]
	v_fma_f64 v[67:68], v[67:68], v[29:30], v[21:22]
	ds_load_b128 v[17:20], v0 offset:9408
	ds_load_b128 v[21:24], v0 offset:12544
	v_fma_f64 v[65:66], v[65:66], v[29:30], -v[27:28]
	v_fma_f64 v[73:74], v[73:74], v[33:34], -v[31:32]
	ds_load_b128 v[25:28], v0 offset:10976
	ds_load_b128 v[29:32], v0 offset:14112
	v_fma_f64 v[33:34], v[75:76], v[33:34], v[35:36]
	v_fma_f64 v[75:76], v[77:78], v[37:38], -v[87:88]
	v_fma_f64 v[37:38], v[79:80], v[37:38], v[39:40]
	v_fma_f64 v[8:9], v[8:9], v[41:42], -v[89:90]
	v_fma_f64 v[10:11], v[10:11], v[41:42], v[43:44]
	s_wait_loadcnt_dscnt 0x303
	v_mul_f64_e32 v[35:36], v[19:20], v[47:48]
	v_mul_f64_e32 v[39:40], v[17:18], v[47:48]
	s_wait_loadcnt_dscnt 0x202
	v_mul_f64_e32 v[47:48], v[23:24], v[51:52]
	s_wait_loadcnt_dscnt 0x101
	v_mul_f64_e32 v[41:42], v[25:26], v[55:56]
	v_mul_f64_e32 v[51:52], v[21:22], v[51:52]
	s_wait_loadcnt_dscnt 0x0
	v_mul_f64_e32 v[43:44], v[31:32], v[59:60]
	v_mul_f64_e32 v[77:78], v[27:28], v[55:56]
	;; [unrolled: 1-line block ×3, first 2 shown]
	v_fma_f64 v[17:18], v[17:18], v[45:46], -v[35:36]
	v_add_f64_e32 v[35:36], v[81:82], v[61:62]
	v_fma_f64 v[21:22], v[21:22], v[49:50], -v[47:48]
	v_fma_f64 v[27:28], v[27:28], v[53:54], v[41:42]
	v_add_f64_e32 v[41:42], v[85:86], v[69:70]
	v_fma_f64 v[19:20], v[19:20], v[45:46], v[39:40]
	v_fma_f64 v[23:24], v[23:24], v[49:50], v[51:52]
	v_fma_f64 v[29:30], v[29:30], v[57:58], -v[43:44]
	v_add_f64_e32 v[39:40], v[83:84], v[63:64]
	v_add_f64_e32 v[43:44], v[12:13], v[71:72]
	v_fma_f64 v[25:26], v[25:26], v[53:54], -v[77:78]
	v_add_f64_e32 v[45:46], v[65:66], v[8:9]
	v_add_f64_e32 v[49:50], v[73:74], v[75:76]
	v_fma_f64 v[31:32], v[31:32], v[57:58], v[55:56]
	v_add_f64_e32 v[47:48], v[67:68], v[10:11]
	v_add_f64_e32 v[51:52], v[33:34], v[37:38]
	v_add_f64_e64 v[69:70], v[85:86], -v[69:70]
	v_add_f64_e64 v[61:62], v[81:82], -v[61:62]
	;; [unrolled: 1-line block ×8, first 2 shown]
	v_add_f64_e32 v[53:54], v[17:18], v[21:22]
	v_add_f64_e64 v[21:22], v[21:22], -v[17:18]
	v_add_f64_e32 v[77:78], v[41:42], v[35:36]
	v_add_f64_e32 v[55:56], v[19:20], v[23:24]
	v_add_f64_e64 v[23:24], v[23:24], -v[19:20]
	ds_load_b128 v[8:11], v15
	ds_load_b128 v[17:20], v0 offset:1568
	v_add_f64_e32 v[79:80], v[43:44], v[39:40]
	v_add_f64_e32 v[57:58], v[25:26], v[29:30]
	v_add_f64_e64 v[25:26], v[29:30], -v[25:26]
	v_add_f64_e32 v[87:88], v[49:50], v[45:46]
	v_add_f64_e32 v[59:60], v[27:28], v[31:32]
	v_add_f64_e64 v[27:28], v[31:32], -v[27:28]
	v_add_f64_e32 v[89:90], v[51:52], v[47:48]
	v_add_f64_e64 v[85:86], v[51:52], -v[47:48]
	global_wb scope:SCOPE_SE
	s_wait_dscnt 0x0
	s_barrier_signal -1
	s_barrier_wait -1
	global_inv scope:SCOPE_SE
	v_add_f64_e64 v[75:76], v[35:36], -v[53:54]
	v_add_f64_e64 v[35:36], v[41:42], -v[35:36]
	v_add_f64_e32 v[29:30], v[53:54], v[77:78]
	v_add_f64_e64 v[53:54], v[53:54], -v[41:42]
	v_add_f64_e64 v[77:78], v[21:22], -v[69:70]
	;; [unrolled: 1-line block ×3, first 2 shown]
	v_add_f64_e32 v[83:84], v[23:24], v[12:13]
	v_add_f64_e32 v[31:32], v[55:56], v[79:80]
	;; [unrolled: 1-line block ×3, first 2 shown]
	v_add_f64_e64 v[69:70], v[69:70], -v[61:62]
	v_add_f64_e64 v[12:13], v[12:13], -v[63:64]
	;; [unrolled: 1-line block ×4, first 2 shown]
	v_add_f64_e32 v[37:38], v[57:58], v[87:88]
	v_add_f64_e64 v[43:44], v[55:56], -v[43:44]
	v_add_f64_e64 v[55:56], v[49:50], -v[45:46]
	;; [unrolled: 1-line block ×4, first 2 shown]
	v_add_f64_e32 v[57:58], v[25:26], v[71:72]
	v_add_f64_e32 v[73:74], v[59:60], v[89:90]
	v_add_f64_e64 v[47:48], v[47:48], -v[59:60]
	v_add_f64_e64 v[51:52], v[59:60], -v[51:52]
	v_add_f64_e32 v[59:60], v[27:28], v[33:34]
	v_add_f64_e64 v[87:88], v[25:26], -v[71:72]
	v_add_f64_e64 v[89:90], v[27:28], -v[33:34]
	;; [unrolled: 1-line block ×8, first 2 shown]
	v_mul_f64_e32 v[75:76], s[6:7], v[75:76]
	v_add_f64_e32 v[8:9], v[8:9], v[29:30]
	v_mul_f64_e32 v[91:92], s[14:15], v[53:54]
	v_mul_f64_e32 v[77:78], s[2:3], v[77:78]
	v_mul_f64_e32 v[81:82], s[2:3], v[81:82]
	v_add_f64_e32 v[63:64], v[83:84], v[63:64]
	v_add_f64_e32 v[10:11], v[10:11], v[31:32]
	;; [unrolled: 1-line block ×3, first 2 shown]
	v_mul_f64_e32 v[79:80], s[0:1], v[69:70]
	v_mul_f64_e32 v[83:84], s[0:1], v[12:13]
	;; [unrolled: 1-line block ×3, first 2 shown]
	v_add_f64_e32 v[17:18], v[17:18], v[37:38]
	v_mul_f64_e32 v[45:46], s[6:7], v[45:46]
	v_add_f64_e32 v[57:58], v[57:58], v[65:66]
	v_mul_f64_e32 v[65:66], s[14:15], v[43:44]
	v_add_f64_e32 v[19:20], v[19:20], v[73:74]
	v_mul_f64_e32 v[47:48], s[6:7], v[47:48]
	v_add_f64_e32 v[59:60], v[59:60], v[67:68]
	v_mul_f64_e32 v[67:68], s[2:3], v[87:88]
	v_mul_f64_e32 v[87:88], s[2:3], v[89:90]
	v_mul_f64_e32 v[89:90], s[0:1], v[71:72]
	v_fma_f64 v[53:54], v[53:54], s[14:15], v[75:76]
	v_fma_f64 v[29:30], v[29:30], s[18:19], v[8:9]
	v_fma_f64 v[91:92], v[35:36], s[16:17], -v[91:92]
	v_fma_f64 v[35:36], v[35:36], s[20:21], -v[75:76]
	v_mul_f64_e32 v[75:76], s[0:1], v[33:34]
	v_fma_f64 v[69:70], v[69:70], s[0:1], -v[77:78]
	v_fma_f64 v[77:78], v[21:22], s[12:13], v[77:78]
	v_fma_f64 v[12:13], v[12:13], s[0:1], -v[81:82]
	v_fma_f64 v[21:22], v[21:22], s[10:11], -v[79:80]
	v_mul_f64_e32 v[79:80], s[14:15], v[49:50]
	v_fma_f64 v[81:82], v[23:24], s[12:13], v[81:82]
	v_fma_f64 v[23:24], v[23:24], s[10:11], -v[83:84]
	v_mul_f64_e32 v[83:84], s[14:15], v[51:52]
	v_fma_f64 v[43:44], v[43:44], s[14:15], v[39:40]
	v_fma_f64 v[31:32], v[31:32], s[18:19], v[10:11]
	v_fma_f64 v[39:40], v[41:42], s[20:21], -v[39:40]
	v_fma_f64 v[37:38], v[37:38], s[18:19], v[17:18]
	v_fma_f64 v[65:66], v[41:42], s[16:17], -v[65:66]
	v_fma_f64 v[41:42], v[49:50], s[14:15], v[45:46]
	v_fma_f64 v[51:52], v[51:52], s[14:15], v[47:48]
	;; [unrolled: 1-line block ×4, first 2 shown]
	v_fma_f64 v[67:68], v[71:72], s[0:1], -v[67:68]
	v_fma_f64 v[71:72], v[27:28], s[12:13], v[87:88]
	v_fma_f64 v[25:26], v[25:26], s[10:11], -v[89:90]
	v_fma_f64 v[45:46], v[55:56], s[20:21], -v[45:46]
	;; [unrolled: 1-line block ×4, first 2 shown]
	v_add_f64_e32 v[53:54], v[53:54], v[29:30]
	v_fma_f64 v[27:28], v[27:28], s[10:11], -v[75:76]
	v_fma_f64 v[69:70], v[61:62], s[22:23], v[69:70]
	v_fma_f64 v[77:78], v[61:62], s[22:23], v[77:78]
	;; [unrolled: 1-line block ×4, first 2 shown]
	v_fma_f64 v[55:56], v[55:56], s[16:17], -v[79:80]
	v_fma_f64 v[79:80], v[63:64], s[22:23], v[81:82]
	v_fma_f64 v[63:64], v[63:64], s[22:23], v[23:24]
	v_fma_f64 v[75:76], v[85:86], s[16:17], -v[83:84]
	v_add_f64_e32 v[81:82], v[35:36], v[29:30]
	v_add_f64_e32 v[43:44], v[43:44], v[31:32]
	;; [unrolled: 1-line block ×7, first 2 shown]
	v_fma_f64 v[83:84], v[57:58], s[22:23], v[49:50]
	v_fma_f64 v[67:68], v[57:58], s[22:23], v[67:68]
	;; [unrolled: 1-line block ×4, first 2 shown]
	v_add_f64_e32 v[95:96], v[45:46], v[37:38]
	v_add_f64_e32 v[97:98], v[47:48], v[73:74]
	v_fma_f64 v[85:86], v[59:60], s[22:23], v[33:34]
	v_fma_f64 v[89:90], v[59:60], s[22:23], v[27:28]
	v_add_f64_e32 v[57:58], v[55:56], v[37:38]
	v_add_f64_e32 v[21:22], v[79:80], v[53:54]
	v_add_f64_e64 v[41:42], v[53:54], -v[79:80]
	v_add_f64_e32 v[59:60], v[75:76], v[73:74]
	v_add_f64_e32 v[25:26], v[63:64], v[81:82]
	v_add_f64_e64 v[23:24], v[43:44], -v[77:78]
	v_add_f64_e64 v[27:28], v[39:40], -v[61:62]
	;; [unrolled: 1-line block ×3, first 2 shown]
	v_add_f64_e32 v[33:34], v[12:13], v[35:36]
	v_add_f64_e32 v[31:32], v[69:70], v[65:66]
	v_add_f64_e64 v[35:36], v[65:66], -v[69:70]
	v_add_f64_e64 v[37:38], v[81:82], -v[63:64]
	v_add_f64_e32 v[39:40], v[61:62], v[39:40]
	v_add_f64_e32 v[43:44], v[77:78], v[43:44]
	v_add_f64_e64 v[47:48], v[93:94], -v[83:84]
	v_add_f64_e32 v[45:46], v[71:72], v[91:92]
	v_add_f64_e64 v[65:66], v[91:92], -v[71:72]
	v_mul_u32_u24_e32 v12, 6, v4
	v_add_f64_e64 v[51:52], v[97:98], -v[87:88]
	v_add_f64_e32 v[63:64], v[87:88], v[97:98]
	s_delay_alu instid0(VALU_DEP_3)
	v_lshlrev_b32_e32 v12, 4, v12
	v_add_f64_e32 v[49:50], v[89:90], v[95:96]
	v_add_f64_e64 v[61:62], v[95:96], -v[89:90]
	v_add_f64_e64 v[53:54], v[57:58], -v[85:86]
	v_add_f64_e32 v[57:58], v[85:86], v[57:58]
	v_add_f64_e32 v[55:56], v[67:68], v[59:60]
	v_add_f64_e64 v[59:60], v[59:60], -v[67:68]
	v_add_f64_e32 v[67:68], v[83:84], v[93:94]
	ds_store_b128 v2, v[8:11]
	ds_store_b128 v2, v[21:24] offset:448
	ds_store_b128 v2, v[25:28] offset:896
	;; [unrolled: 1-line block ×6, first 2 shown]
	ds_store_b128 v1, v[17:20]
	ds_store_b128 v1, v[45:48] offset:448
	ds_store_b128 v1, v[49:52] offset:896
	;; [unrolled: 1-line block ×6, first 2 shown]
	global_wb scope:SCOPE_SE
	s_wait_dscnt 0x0
	s_barrier_signal -1
	s_barrier_wait -1
	global_inv scope:SCOPE_SE
	s_clause 0xb
	global_load_b128 v[8:11], v12, s[4:5] offset:3104
	global_load_b128 v[16:19], v12, s[4:5] offset:3120
	;; [unrolled: 1-line block ×12, first 2 shown]
	ds_load_b128 v[60:63], v0 offset:3136
	ds_load_b128 v[64:67], v0 offset:6272
	;; [unrolled: 1-line block ×4, first 2 shown]
	s_wait_loadcnt_dscnt 0xb03
	v_mul_f64_e32 v[1:2], v[62:63], v[10:11]
	v_mul_f64_e32 v[84:85], v[60:61], v[10:11]
	ds_load_b128 v[10:13], v0 offset:7840
	s_wait_loadcnt_dscnt 0xa03
	v_mul_f64_e32 v[86:87], v[66:67], v[18:19]
	ds_load_b128 v[76:79], v0 offset:18816
	ds_load_b128 v[80:83], v0 offset:17248
	s_wait_loadcnt_dscnt 0x903
	v_mul_f64_e32 v[88:89], v[74:75], v[22:23]
	v_mul_f64_e32 v[18:19], v[64:65], v[18:19]
	;; [unrolled: 1-line block ×3, first 2 shown]
	s_wait_loadcnt_dscnt 0x602
	v_mul_f64_e32 v[90:91], v[12:13], v[34:35]
	v_mul_f64_e32 v[34:35], v[10:11], v[34:35]
	v_fma_f64 v[1:2], v[60:61], v[8:9], -v[1:2]
	v_fma_f64 v[8:9], v[62:63], v[8:9], v[84:85]
	s_wait_dscnt 0x1
	v_mul_f64_e32 v[84:85], v[78:79], v[26:27]
	ds_load_b128 v[60:63], v0 offset:20384
	v_mul_f64_e32 v[26:27], v[76:77], v[26:27]
	v_fma_f64 v[64:65], v[64:65], v[16:17], -v[86:87]
	v_mul_f64_e32 v[86:87], v[70:71], v[30:31]
	v_mul_f64_e32 v[30:31], v[68:69], v[30:31]
	v_fma_f64 v[72:73], v[72:73], v[20:21], -v[88:89]
	v_fma_f64 v[66:67], v[66:67], v[16:17], v[18:19]
	v_fma_f64 v[74:75], v[74:75], v[20:21], v[22:23]
	ds_load_b128 v[16:19], v0 offset:9408
	ds_load_b128 v[20:23], v0 offset:12544
	v_fma_f64 v[10:11], v[10:11], v[32:33], -v[90:91]
	s_wait_loadcnt_dscnt 0x502
	v_mul_f64_e32 v[88:89], v[62:63], v[38:39]
	v_mul_f64_e32 v[38:39], v[60:61], v[38:39]
	v_fma_f64 v[12:13], v[12:13], v[32:33], v[34:35]
	s_wait_loadcnt_dscnt 0x301
	v_mul_f64_e32 v[32:33], v[18:19], v[46:47]
	v_mul_f64_e32 v[34:35], v[16:17], v[46:47]
	s_wait_loadcnt_dscnt 0x200
	v_mul_f64_e32 v[46:47], v[22:23], v[50:51]
	v_mul_f64_e32 v[50:51], v[20:21], v[50:51]
	v_fma_f64 v[76:77], v[76:77], v[24:25], -v[84:85]
	v_mul_f64_e32 v[84:85], v[82:83], v[42:43]
	v_mul_f64_e32 v[42:43], v[80:81], v[42:43]
	v_fma_f64 v[78:79], v[78:79], v[24:25], v[26:27]
	v_fma_f64 v[68:69], v[68:69], v[28:29], -v[86:87]
	v_fma_f64 v[70:71], v[70:71], v[28:29], v[30:31]
	ds_load_b128 v[24:27], v0 offset:10976
	ds_load_b128 v[28:31], v0 offset:14112
	v_fma_f64 v[60:61], v[60:61], v[36:37], -v[88:89]
	v_fma_f64 v[36:37], v[62:63], v[36:37], v[38:39]
	s_wait_loadcnt_dscnt 0x101
	v_mul_f64_e32 v[38:39], v[26:27], v[54:55]
	v_mul_f64_e32 v[54:55], v[24:25], v[54:55]
	s_wait_loadcnt_dscnt 0x0
	v_mul_f64_e32 v[62:63], v[30:31], v[58:59]
	v_mul_f64_e32 v[58:59], v[28:29], v[58:59]
	v_fma_f64 v[16:17], v[16:17], v[44:45], -v[32:33]
	v_fma_f64 v[18:19], v[18:19], v[44:45], v[34:35]
	v_fma_f64 v[20:21], v[20:21], v[48:49], -v[46:47]
	v_fma_f64 v[22:23], v[22:23], v[48:49], v[50:51]
	v_add_f64_e32 v[44:45], v[66:67], v[74:75]
	v_add_f64_e32 v[32:33], v[1:2], v[76:77]
	v_fma_f64 v[80:81], v[80:81], v[40:41], -v[84:85]
	v_fma_f64 v[40:41], v[82:83], v[40:41], v[42:43]
	v_add_f64_e32 v[34:35], v[8:9], v[78:79]
	v_add_f64_e32 v[42:43], v[64:65], v[72:73]
	v_add_f64_e64 v[1:2], v[1:2], -v[76:77]
	v_add_f64_e32 v[46:47], v[70:71], v[36:37]
	v_add_f64_e64 v[36:37], v[70:71], -v[36:37]
	v_fma_f64 v[24:25], v[24:25], v[52:53], -v[38:39]
	v_fma_f64 v[26:27], v[26:27], v[52:53], v[54:55]
	v_fma_f64 v[28:29], v[28:29], v[56:57], -v[62:63]
	v_fma_f64 v[30:31], v[30:31], v[56:57], v[58:59]
	v_add_f64_e32 v[38:39], v[68:69], v[60:61]
	v_add_f64_e64 v[52:53], v[64:65], -v[72:73]
	v_add_f64_e32 v[54:55], v[16:17], v[20:21]
	v_add_f64_e32 v[56:57], v[18:19], v[22:23]
	v_add_f64_e64 v[20:21], v[20:21], -v[16:17]
	v_add_f64_e64 v[16:17], v[66:67], -v[74:75]
	;; [unrolled: 1-line block ×4, first 2 shown]
	v_add_f64_e32 v[48:49], v[10:11], v[80:81]
	v_add_f64_e32 v[50:51], v[12:13], v[40:41]
	;; [unrolled: 1-line block ×4, first 2 shown]
	v_add_f64_e64 v[8:9], v[10:11], -v[80:81]
	v_add_f64_e64 v[12:13], v[12:13], -v[40:41]
	v_add_f64_e32 v[40:41], v[24:25], v[28:29]
	v_add_f64_e32 v[64:65], v[26:27], v[30:31]
	v_add_f64_e64 v[24:25], v[28:29], -v[24:25]
	v_add_f64_e64 v[26:27], v[30:31], -v[26:27]
	;; [unrolled: 1-line block ×9, first 2 shown]
	v_add_f64_e32 v[78:79], v[22:23], v[16:17]
	v_add_f64_e32 v[10:11], v[48:49], v[38:39]
	;; [unrolled: 1-line block ×5, first 2 shown]
	v_add_f64_e64 v[58:59], v[52:53], -v[1:2]
	v_add_f64_e32 v[52:53], v[20:21], v[52:53]
	v_add_f64_e64 v[76:77], v[16:17], -v[62:63]
	v_add_f64_e64 v[92:93], v[12:13], -v[36:37]
	;; [unrolled: 1-line block ×12, first 2 shown]
	v_add_f64_e32 v[94:95], v[24:25], v[8:9]
	v_add_f64_e32 v[12:13], v[26:27], v[12:13]
	v_add_f64_e64 v[38:39], v[48:49], -v[38:39]
	v_mul_f64_e32 v[44:45], s[6:7], v[60:61]
	v_mul_f64_e32 v[46:47], s[6:7], v[66:67]
	;; [unrolled: 1-line block ×4, first 2 shown]
	v_add_f64_e32 v[88:89], v[40:41], v[10:11]
	v_add_f64_e32 v[28:29], v[64:65], v[28:29]
	v_add_f64_e64 v[40:41], v[40:41], -v[48:49]
	v_add_f64_e64 v[64:65], v[64:65], -v[50:51]
	ds_load_b128 v[8:11], v15
	ds_load_b128 v[15:18], v0 offset:1568
	v_mul_f64_e32 v[48:49], s[2:3], v[68:69]
	v_mul_f64_e32 v[50:51], s[14:15], v[70:71]
	;; [unrolled: 1-line block ×3, first 2 shown]
	v_add_f64_e64 v[23:24], v[30:31], -v[24:25]
	v_add_f64_e64 v[25:26], v[36:37], -v[26:27]
	v_add_f64_e32 v[1:2], v[52:53], v[1:2]
	v_add_f64_e32 v[52:53], v[78:79], v[62:63]
	v_mul_f64_e32 v[72:73], s[0:1], v[76:77]
	global_wb scope:SCOPE_SE
	s_wait_dscnt 0x0
	s_barrier_signal -1
	s_barrier_wait -1
	global_inv scope:SCOPE_SE
	v_add_f64_e32 v[8:9], v[8:9], v[54:55]
	v_add_f64_e32 v[10:11], v[10:11], v[56:57]
	v_mul_f64_e32 v[62:63], s[6:7], v[80:81]
	v_mul_f64_e32 v[78:79], s[6:7], v[82:83]
	;; [unrolled: 1-line block ×6, first 2 shown]
	v_add_f64_e32 v[30:31], v[94:95], v[30:31]
	v_add_f64_e32 v[12:13], v[12:13], v[36:37]
	v_fma_f64 v[70:71], v[70:71], s[14:15], v[44:45]
	v_fma_f64 v[74:75], v[74:75], s[14:15], v[46:47]
	v_fma_f64 v[76:77], v[76:77], s[0:1], -v[60:61]
	v_fma_f64 v[60:61], v[21:22], s[12:13], v[60:61]
	v_add_f64_e32 v[15:16], v[15:16], v[88:89]
	v_add_f64_e32 v[17:18], v[17:18], v[28:29]
	v_mul_f64_e32 v[36:37], s[14:15], v[40:41]
	v_mul_f64_e32 v[94:95], s[14:15], v[64:65]
	v_fma_f64 v[66:67], v[34:35], s[16:17], -v[66:67]
	v_fma_f64 v[34:35], v[34:35], s[20:21], -v[46:47]
	;; [unrolled: 1-line block ×3, first 2 shown]
	v_fma_f64 v[48:49], v[19:20], s[12:13], v[48:49]
	v_fma_f64 v[50:51], v[32:33], s[16:17], -v[50:51]
	v_fma_f64 v[19:20], v[19:20], s[10:11], -v[68:69]
	;; [unrolled: 1-line block ×4, first 2 shown]
	v_fma_f64 v[54:55], v[54:55], s[18:19], v[8:9]
	v_fma_f64 v[56:57], v[56:57], s[18:19], v[10:11]
	;; [unrolled: 1-line block ×6, first 2 shown]
	v_fma_f64 v[68:69], v[90:91], s[0:1], -v[80:81]
	v_fma_f64 v[72:73], v[92:93], s[0:1], -v[82:83]
	;; [unrolled: 1-line block ×6, first 2 shown]
	v_fma_f64 v[80:81], v[88:89], s[18:19], v[15:16]
	v_fma_f64 v[27:28], v[28:29], s[18:19], v[17:18]
	v_fma_f64 v[36:37], v[38:39], s[16:17], -v[36:37]
	v_fma_f64 v[38:39], v[42:43], s[16:17], -v[94:95]
	v_fma_f64 v[58:59], v[1:2], s[22:23], v[58:59]
	v_fma_f64 v[42:43], v[1:2], s[22:23], v[48:49]
	;; [unrolled: 1-line block ×6, first 2 shown]
	v_add_f64_e32 v[70:71], v[70:71], v[54:55]
	v_add_f64_e32 v[74:75], v[74:75], v[56:57]
	;; [unrolled: 1-line block ×4, first 2 shown]
	v_fma_f64 v[66:67], v[30:31], s[22:23], v[46:47]
	v_fma_f64 v[64:65], v[12:13], s[22:23], v[64:65]
	v_add_f64_e32 v[76:77], v[32:33], v[54:55]
	v_add_f64_e32 v[32:33], v[50:51], v[54:55]
	v_fma_f64 v[55:56], v[12:13], s[22:23], v[72:73]
	v_fma_f64 v[72:73], v[30:31], s[22:23], v[23:24]
	;; [unrolled: 1-line block ×4, first 2 shown]
	v_add_f64_e32 v[84:85], v[40:41], v[80:81]
	v_add_f64_e32 v[86:87], v[44:45], v[27:28]
	;; [unrolled: 1-line block ×7, first 2 shown]
	v_add_f64_e64 v[21:22], v[74:75], -v[42:43]
	v_add_f64_e32 v[41:42], v[42:43], v[74:75]
	v_add_f64_e64 v[25:26], v[82:83], -v[1:2]
	v_add_f64_e64 v[39:40], v[70:71], -v[48:49]
	v_add_f64_e32 v[29:30], v[58:59], v[34:35]
	v_add_f64_e32 v[23:24], v[52:53], v[76:77]
	v_add_f64_e64 v[27:28], v[32:33], -v[60:61]
	v_add_f64_e32 v[31:32], v[60:61], v[32:33]
	v_add_f64_e64 v[33:34], v[34:35], -v[58:59]
	v_add_f64_e64 v[35:36], v[76:77], -v[52:53]
	v_add_f64_e32 v[37:38], v[1:2], v[82:83]
	v_add_f64_e32 v[43:44], v[64:65], v[84:85]
	;; [unrolled: 6-line block ×3, first 2 shown]
	v_add_f64_e64 v[57:58], v[88:89], -v[68:69]
	v_add_f64_e64 v[59:60], v[62:63], -v[12:13]
	v_add_f64_e32 v[61:62], v[72:73], v[78:79]
	v_add_f64_e64 v[63:64], v[84:85], -v[64:65]
	v_add_f64_e32 v[65:66], v[66:67], v[86:87]
	ds_store_b128 v0, v[8:11]
	ds_store_b128 v0, v[15:18] offset:1568
	ds_store_b128 v0, v[19:22] offset:3136
	;; [unrolled: 1-line block ×13, first 2 shown]
	global_wb scope:SCOPE_SE
	s_wait_dscnt 0x0
	s_barrier_signal -1
	s_barrier_wait -1
	global_inv scope:SCOPE_SE
	s_and_saveexec_b32 s0, vcc_lo
	s_cbranch_execz .LBB0_19
; %bb.18:
	v_dual_mov_b32 v5, 0 :: v_dual_add_nc_u32 v10, 0x62, v4
	v_add_co_u32 v37, vcc_lo, s8, v6
	v_lshl_add_u32 v36, v4, 4, v14
	s_delay_alu instid0(VALU_DEP_3) | instskip(SKIP_4) | instid1(VALU_DEP_4)
	v_lshlrev_b64_e32 v[0:1], 4, v[4:5]
	s_wait_alu 0xfffd
	v_add_co_ci_u32_e32 v38, vcc_lo, s9, v7, vcc_lo
	v_dual_mov_b32 v11, v5 :: v_dual_add_nc_u32 v12, 0xc4, v4
	v_dual_mov_b32 v13, v5 :: v_dual_add_nc_u32 v24, 0x126, v4
	v_add_co_u32 v18, vcc_lo, v37, v0
	s_wait_alu 0xfffd
	v_add_co_ci_u32_e32 v19, vcc_lo, v38, v1, vcc_lo
	ds_load_b128 v[0:3], v36
	ds_load_b128 v[6:9], v36 offset:1568
	v_lshlrev_b64_e32 v[20:21], 4, v[10:11]
	v_lshlrev_b64_e32 v[22:23], 4, v[12:13]
	ds_load_b128 v[10:13], v36 offset:3136
	ds_load_b128 v[14:17], v36 offset:4704
	v_dual_mov_b32 v25, v5 :: v_dual_add_nc_u32 v26, 0x188, v4
	v_mov_b32_e32 v27, v5
	v_add_co_u32 v20, vcc_lo, v37, v20
	s_delay_alu instid0(VALU_DEP_3)
	v_lshlrev_b64_e32 v[24:25], 4, v[24:25]
	s_wait_alu 0xfffd
	v_add_co_ci_u32_e32 v21, vcc_lo, v38, v21, vcc_lo
	v_add_co_u32 v22, vcc_lo, v37, v22
	s_wait_alu 0xfffd
	v_add_co_ci_u32_e32 v23, vcc_lo, v38, v23, vcc_lo
	v_add_co_u32 v24, vcc_lo, v37, v24
	s_wait_alu 0xfffd
	v_add_co_ci_u32_e32 v25, vcc_lo, v38, v25, vcc_lo
	s_wait_dscnt 0x3
	global_store_b128 v[18:19], v[0:3], off
	s_wait_dscnt 0x2
	global_store_b128 v[20:21], v[6:9], off
	;; [unrolled: 2-line block ×4, first 2 shown]
	v_add_nc_u32_e32 v10, 0x1ea, v4
	v_lshlrev_b64_e32 v[0:1], 4, v[26:27]
	v_dual_mov_b32 v11, v5 :: v_dual_add_nc_u32 v12, 0x24c, v4
	v_dual_mov_b32 v13, v5 :: v_dual_add_nc_u32 v24, 0x2ae, v4
	;; [unrolled: 1-line block ×3, first 2 shown]
	s_delay_alu instid0(VALU_DEP_4)
	v_add_co_u32 v18, vcc_lo, v37, v0
	s_wait_alu 0xfffd
	v_add_co_ci_u32_e32 v19, vcc_lo, v38, v1, vcc_lo
	ds_load_b128 v[0:3], v36 offset:6272
	ds_load_b128 v[6:9], v36 offset:7840
	v_lshlrev_b64_e32 v[20:21], 4, v[10:11]
	v_lshlrev_b64_e32 v[22:23], 4, v[12:13]
	ds_load_b128 v[10:13], v36 offset:9408
	ds_load_b128 v[14:17], v36 offset:10976
	v_lshlrev_b64_e32 v[24:25], 4, v[24:25]
	v_add_co_u32 v20, vcc_lo, v37, v20
	s_wait_alu 0xfffd
	v_add_co_ci_u32_e32 v21, vcc_lo, v38, v21, vcc_lo
	v_add_co_u32 v22, vcc_lo, v37, v22
	s_wait_alu 0xfffd
	v_add_co_ci_u32_e32 v23, vcc_lo, v38, v23, vcc_lo
	v_add_co_u32 v24, vcc_lo, v37, v24
	s_wait_dscnt 0x3
	global_store_b128 v[18:19], v[0:3], off
	s_wait_dscnt 0x2
	global_store_b128 v[20:21], v[6:9], off
	v_dual_mov_b32 v3, v5 :: v_dual_add_nc_u32 v2, 0x372, v4
	s_wait_alu 0xfffd
	v_add_co_ci_u32_e32 v25, vcc_lo, v38, v25, vcc_lo
	v_lshlrev_b64_e32 v[0:1], 4, v[26:27]
	s_wait_dscnt 0x1
	global_store_b128 v[22:23], v[10:13], off
	s_wait_dscnt 0x0
	global_store_b128 v[24:25], v[14:17], off
	v_lshlrev_b64_e32 v[10:11], 4, v[2:3]
	v_dual_mov_b32 v13, v5 :: v_dual_add_nc_u32 v12, 0x3d4, v4
	v_add_co_u32 v26, vcc_lo, v37, v0
	s_wait_alu 0xfffd
	v_add_co_ci_u32_e32 v27, vcc_lo, v38, v1, vcc_lo
	s_delay_alu instid0(VALU_DEP_4)
	v_add_co_u32 v28, vcc_lo, v37, v10
	s_wait_alu 0xfffd
	v_add_co_ci_u32_e32 v29, vcc_lo, v38, v11, vcc_lo
	v_lshlrev_b64_e32 v[10:11], 4, v[12:13]
	v_dual_mov_b32 v19, v5 :: v_dual_add_nc_u32 v18, 0x436, v4
	v_dual_mov_b32 v21, v5 :: v_dual_add_nc_u32 v20, 0x498, v4
	ds_load_b128 v[0:3], v36 offset:12544
	ds_load_b128 v[6:9], v36 offset:14112
	v_add_co_u32 v30, vcc_lo, v37, v10
	s_wait_alu 0xfffd
	v_add_co_ci_u32_e32 v31, vcc_lo, v38, v11, vcc_lo
	ds_load_b128 v[10:13], v36 offset:15680
	ds_load_b128 v[14:17], v36 offset:17248
	v_lshlrev_b64_e32 v[32:33], 4, v[18:19]
	v_lshlrev_b64_e32 v[34:35], 4, v[20:21]
	ds_load_b128 v[18:21], v36 offset:18816
	ds_load_b128 v[22:25], v36 offset:20384
	v_add_nc_u32_e32 v4, 0x4fa, v4
	v_add_co_u32 v32, vcc_lo, v37, v32
	s_delay_alu instid0(VALU_DEP_2)
	v_lshlrev_b64_e32 v[4:5], 4, v[4:5]
	s_wait_alu 0xfffd
	v_add_co_ci_u32_e32 v33, vcc_lo, v38, v33, vcc_lo
	v_add_co_u32 v34, vcc_lo, v37, v34
	s_wait_alu 0xfffd
	v_add_co_ci_u32_e32 v35, vcc_lo, v38, v35, vcc_lo
	v_add_co_u32 v4, vcc_lo, v37, v4
	s_wait_alu 0xfffd
	v_add_co_ci_u32_e32 v5, vcc_lo, v38, v5, vcc_lo
	s_wait_dscnt 0x5
	global_store_b128 v[26:27], v[0:3], off
	s_wait_dscnt 0x4
	global_store_b128 v[28:29], v[6:9], off
	;; [unrolled: 2-line block ×6, first 2 shown]
.LBB0_19:
	s_nop 0
	s_sendmsg sendmsg(MSG_DEALLOC_VGPRS)
	s_endpgm
	.section	.rodata,"a",@progbits
	.p2align	6, 0x0
	.amdhsa_kernel fft_rtc_fwd_len1372_factors_2_2_7_7_7_wgs_196_tpt_98_halfLds_dp_ip_CI_unitstride_sbrr_C2R_dirReg
		.amdhsa_group_segment_fixed_size 0
		.amdhsa_private_segment_fixed_size 0
		.amdhsa_kernarg_size 88
		.amdhsa_user_sgpr_count 2
		.amdhsa_user_sgpr_dispatch_ptr 0
		.amdhsa_user_sgpr_queue_ptr 0
		.amdhsa_user_sgpr_kernarg_segment_ptr 1
		.amdhsa_user_sgpr_dispatch_id 0
		.amdhsa_user_sgpr_private_segment_size 0
		.amdhsa_wavefront_size32 1
		.amdhsa_uses_dynamic_stack 0
		.amdhsa_enable_private_segment 0
		.amdhsa_system_sgpr_workgroup_id_x 1
		.amdhsa_system_sgpr_workgroup_id_y 0
		.amdhsa_system_sgpr_workgroup_id_z 0
		.amdhsa_system_sgpr_workgroup_info 0
		.amdhsa_system_vgpr_workitem_id 0
		.amdhsa_next_free_vgpr 99
		.amdhsa_next_free_sgpr 32
		.amdhsa_reserve_vcc 1
		.amdhsa_float_round_mode_32 0
		.amdhsa_float_round_mode_16_64 0
		.amdhsa_float_denorm_mode_32 3
		.amdhsa_float_denorm_mode_16_64 3
		.amdhsa_fp16_overflow 0
		.amdhsa_workgroup_processor_mode 1
		.amdhsa_memory_ordered 1
		.amdhsa_forward_progress 0
		.amdhsa_round_robin_scheduling 0
		.amdhsa_exception_fp_ieee_invalid_op 0
		.amdhsa_exception_fp_denorm_src 0
		.amdhsa_exception_fp_ieee_div_zero 0
		.amdhsa_exception_fp_ieee_overflow 0
		.amdhsa_exception_fp_ieee_underflow 0
		.amdhsa_exception_fp_ieee_inexact 0
		.amdhsa_exception_int_div_zero 0
	.end_amdhsa_kernel
	.text
.Lfunc_end0:
	.size	fft_rtc_fwd_len1372_factors_2_2_7_7_7_wgs_196_tpt_98_halfLds_dp_ip_CI_unitstride_sbrr_C2R_dirReg, .Lfunc_end0-fft_rtc_fwd_len1372_factors_2_2_7_7_7_wgs_196_tpt_98_halfLds_dp_ip_CI_unitstride_sbrr_C2R_dirReg
                                        ; -- End function
	.section	.AMDGPU.csdata,"",@progbits
; Kernel info:
; codeLenInByte = 11392
; NumSgprs: 34
; NumVgprs: 99
; ScratchSize: 0
; MemoryBound: 0
; FloatMode: 240
; IeeeMode: 1
; LDSByteSize: 0 bytes/workgroup (compile time only)
; SGPRBlocks: 4
; VGPRBlocks: 12
; NumSGPRsForWavesPerEU: 34
; NumVGPRsForWavesPerEU: 99
; Occupancy: 12
; WaveLimiterHint : 1
; COMPUTE_PGM_RSRC2:SCRATCH_EN: 0
; COMPUTE_PGM_RSRC2:USER_SGPR: 2
; COMPUTE_PGM_RSRC2:TRAP_HANDLER: 0
; COMPUTE_PGM_RSRC2:TGID_X_EN: 1
; COMPUTE_PGM_RSRC2:TGID_Y_EN: 0
; COMPUTE_PGM_RSRC2:TGID_Z_EN: 0
; COMPUTE_PGM_RSRC2:TIDIG_COMP_CNT: 0
	.text
	.p2alignl 7, 3214868480
	.fill 96, 4, 3214868480
	.type	__hip_cuid_1f04fe9c1094db42,@object ; @__hip_cuid_1f04fe9c1094db42
	.section	.bss,"aw",@nobits
	.globl	__hip_cuid_1f04fe9c1094db42
__hip_cuid_1f04fe9c1094db42:
	.byte	0                               ; 0x0
	.size	__hip_cuid_1f04fe9c1094db42, 1

	.ident	"AMD clang version 19.0.0git (https://github.com/RadeonOpenCompute/llvm-project roc-6.4.0 25133 c7fe45cf4b819c5991fe208aaa96edf142730f1d)"
	.section	".note.GNU-stack","",@progbits
	.addrsig
	.addrsig_sym __hip_cuid_1f04fe9c1094db42
	.amdgpu_metadata
---
amdhsa.kernels:
  - .args:
      - .actual_access:  read_only
        .address_space:  global
        .offset:         0
        .size:           8
        .value_kind:     global_buffer
      - .offset:         8
        .size:           8
        .value_kind:     by_value
      - .actual_access:  read_only
        .address_space:  global
        .offset:         16
        .size:           8
        .value_kind:     global_buffer
      - .actual_access:  read_only
        .address_space:  global
        .offset:         24
        .size:           8
        .value_kind:     global_buffer
      - .offset:         32
        .size:           8
        .value_kind:     by_value
      - .actual_access:  read_only
        .address_space:  global
        .offset:         40
        .size:           8
        .value_kind:     global_buffer
      - .actual_access:  read_only
        .address_space:  global
        .offset:         48
        .size:           8
        .value_kind:     global_buffer
      - .offset:         56
        .size:           4
        .value_kind:     by_value
      - .actual_access:  read_only
        .address_space:  global
        .offset:         64
        .size:           8
        .value_kind:     global_buffer
      - .actual_access:  read_only
        .address_space:  global
        .offset:         72
        .size:           8
        .value_kind:     global_buffer
      - .address_space:  global
        .offset:         80
        .size:           8
        .value_kind:     global_buffer
    .group_segment_fixed_size: 0
    .kernarg_segment_align: 8
    .kernarg_segment_size: 88
    .language:       OpenCL C
    .language_version:
      - 2
      - 0
    .max_flat_workgroup_size: 196
    .name:           fft_rtc_fwd_len1372_factors_2_2_7_7_7_wgs_196_tpt_98_halfLds_dp_ip_CI_unitstride_sbrr_C2R_dirReg
    .private_segment_fixed_size: 0
    .sgpr_count:     34
    .sgpr_spill_count: 0
    .symbol:         fft_rtc_fwd_len1372_factors_2_2_7_7_7_wgs_196_tpt_98_halfLds_dp_ip_CI_unitstride_sbrr_C2R_dirReg.kd
    .uniform_work_group_size: 1
    .uses_dynamic_stack: false
    .vgpr_count:     99
    .vgpr_spill_count: 0
    .wavefront_size: 32
    .workgroup_processor_mode: 1
amdhsa.target:   amdgcn-amd-amdhsa--gfx1201
amdhsa.version:
  - 1
  - 2
...

	.end_amdgpu_metadata
